;; amdgpu-corpus repo=ROCm/rocFFT kind=compiled arch=gfx1030 opt=O3
	.text
	.amdgcn_target "amdgcn-amd-amdhsa--gfx1030"
	.amdhsa_code_object_version 6
	.protected	bluestein_single_fwd_len780_dim1_dp_op_CI_CI ; -- Begin function bluestein_single_fwd_len780_dim1_dp_op_CI_CI
	.globl	bluestein_single_fwd_len780_dim1_dp_op_CI_CI
	.p2align	8
	.type	bluestein_single_fwd_len780_dim1_dp_op_CI_CI,@function
bluestein_single_fwd_len780_dim1_dp_op_CI_CI: ; @bluestein_single_fwd_len780_dim1_dp_op_CI_CI
; %bb.0:
	s_load_dwordx4 s[8:11], s[4:5], 0x28
	v_mul_u32_u24_e32 v1, 0x349, v0
	s_mov_b64 s[54:55], s[2:3]
	s_mov_b64 s[52:53], s[0:1]
	s_add_u32 s52, s52, s7
	v_lshrrev_b32_e32 v1, 16, v1
	s_addc_u32 s53, s53, 0
	v_mad_u64_u32 v[184:185], null, s6, 3, v[1:2]
	v_mov_b32_e32 v185, 0
                                        ; kill: def $vgpr2 killed $sgpr0 killed $exec
	s_mov_b32 s0, exec_lo
	s_waitcnt lgkmcnt(0)
	v_cmpx_gt_u64_e64 s[8:9], v[184:185]
	s_cbranch_execz .LBB0_18
; %bb.1:
	s_clause 0x1
	s_load_dwordx4 s[0:3], s[4:5], 0x18
	s_load_dwordx4 s[12:15], s[4:5], 0x0
	v_mul_lo_u16 v1, 0x4e, v1
	v_sub_nc_u16 v0, v0, v1
	v_and_b32_e32 v255, 0xffff, v0
	v_lshlrev_b32_e32 v209, 4, v255
	s_waitcnt lgkmcnt(0)
	s_load_dwordx4 s[16:19], s[0:1], 0x0
	s_clause 0x1
	global_load_dwordx4 v[28:31], v209, s[12:13]
	global_load_dwordx4 v[94:97], v209, s[12:13] offset:1248
	v_add_co_u32 v14, s0, s12, v209
	v_add_co_ci_u32_e64 v15, null, s13, 0, s0
	v_add_co_u32 v1, vcc_lo, 0x1800, v14
	v_add_co_ci_u32_e32 v2, vcc_lo, 0, v15, vcc_lo
	v_add_co_u32 v7, vcc_lo, 0x800, v14
	v_add_co_ci_u32_e32 v8, vcc_lo, 0, v15, vcc_lo
	;; [unrolled: 2-line block ×3, first 2 shown]
	s_waitcnt lgkmcnt(0)
	v_mad_u64_u32 v[3:4], null, s18, v184, 0
	v_mad_u64_u32 v[5:6], null, s16, v255, 0
	v_add_co_u32 v25, vcc_lo, 0x1000, v14
	s_clause 0x1
	global_load_dwordx4 v[102:105], v[1:2], off offset:96
	global_load_dwordx4 v[98:101], v[1:2], off offset:1344
	v_add_co_ci_u32_e32 v26, vcc_lo, 0, v15, vcc_lo
	v_add_co_u32 v36, vcc_lo, 0x2800, v14
	v_mad_u64_u32 v[11:12], null, s19, v184, v[4:5]
	v_mad_u64_u32 v[12:13], null, s17, v255, v[6:7]
	v_add_co_ci_u32_e32 v37, vcc_lo, 0, v15, vcc_lo
	s_mul_i32 s0, s17, 0x1860
	s_mul_hi_u32 s1, s16, 0x1860
	v_mov_b32_e32 v4, v11
	s_mul_i32 s6, s16, 0x1860
	v_mov_b32_e32 v6, v12
	s_add_i32 s1, s1, s0
	s_mul_hi_u32 s8, s16, 0xffffec80
	v_lshlrev_b64 v[1:2], 4, v[3:4]
	s_mul_i32 s7, s17, 0xffffec80
	v_lshlrev_b64 v[3:4], 4, v[5:6]
	s_mul_i32 s9, s16, 0xffffec80
	s_sub_i32 s0, s8, s16
	s_clause 0x1
	global_load_dwordx4 v[114:117], v[7:8], off offset:448
	global_load_dwordx4 v[106:109], v[7:8], off offset:1696
	v_add_co_u32 v1, vcc_lo, s10, v1
	v_add_co_ci_u32_e32 v2, vcc_lo, s11, v2, vcc_lo
	s_add_i32 s0, s0, s7
	v_add_co_u32 v1, vcc_lo, v1, v3
	v_add_co_ci_u32_e32 v2, vcc_lo, v2, v4, vcc_lo
	s_clause 0x1
	global_load_dwordx4 v[118:121], v[9:10], off offset:544
	global_load_dwordx4 v[110:113], v[9:10], off offset:1792
	v_add_co_u32 v5, vcc_lo, v1, s6
	v_add_co_ci_u32_e32 v6, vcc_lo, s1, v2, vcc_lo
	v_add_co_u32 v11, vcc_lo, v5, s9
	v_add_co_ci_u32_e32 v12, vcc_lo, s0, v6, vcc_lo
	s_clause 0x1
	global_load_dwordx4 v[1:4], v[1:2], off
	global_load_dwordx4 v[5:8], v[5:6], off
	v_add_co_u32 v13, vcc_lo, v11, s6
	v_add_co_ci_u32_e32 v14, vcc_lo, s1, v12, vcc_lo
	v_add_co_u32 v17, vcc_lo, v13, s9
	v_add_co_ci_u32_e32 v18, vcc_lo, s0, v14, vcc_lo
	s_clause 0x1
	global_load_dwordx4 v[9:12], v[11:12], off
	global_load_dwordx4 v[13:16], v[13:14], off
	v_add_co_u32 v21, vcc_lo, v17, s6
	v_add_co_ci_u32_e32 v22, vcc_lo, s1, v18, vcc_lo
	global_load_dwordx4 v[17:20], v[17:18], off
	v_add_co_u32 v32, vcc_lo, v21, s9
	v_add_co_ci_u32_e32 v33, vcc_lo, s0, v22, vcc_lo
	;; [unrolled: 3-line block ×4, first 2 shown]
	v_add_co_u32 v52, vcc_lo, v38, s6
	v_add_co_ci_u32_e32 v53, vcc_lo, s1, v39, vcc_lo
	global_load_dwordx4 v[44:47], v[34:35], off
	global_load_dwordx4 v[32:35], v[25:26], off offset:896
	global_load_dwordx4 v[48:51], v[38:39], off
	global_load_dwordx4 v[36:39], v[36:37], off offset:992
	global_load_dwordx4 v[52:55], v[52:53], off
	v_mul_hi_u32 v25, 0xaaaaaaab, v184
	v_cmp_gt_u16_e32 vcc_lo, 26, v0
	v_lshrrev_b32_e32 v25, 1, v25
	v_lshl_add_u32 v25, v25, 1, v25
	v_sub_nc_u32_e32 v27, v184, v25
	v_mul_u32_u24_e32 v211, 0x30c, v27
	s_waitcnt vmcnt(11)
	v_mul_f64 v[25:26], v[3:4], v[30:31]
	s_waitcnt vmcnt(10)
	v_mul_f64 v[58:59], v[7:8], v[104:105]
	v_mul_f64 v[56:57], v[1:2], v[30:31]
	v_mul_f64 v[60:61], v[5:6], v[104:105]
	s_waitcnt vmcnt(9)
	v_mul_f64 v[62:63], v[11:12], v[96:97]
	s_waitcnt vmcnt(8)
	v_mul_f64 v[66:67], v[15:16], v[100:101]
	v_mul_f64 v[64:65], v[9:10], v[96:97]
	;; [unrolled: 1-line block ×3, first 2 shown]
	s_waitcnt vmcnt(7)
	v_mul_f64 v[70:71], v[19:20], v[116:117]
	v_mul_f64 v[72:73], v[17:18], v[116:117]
	s_waitcnt vmcnt(6)
	v_mul_f64 v[74:75], v[23:24], v[120:121]
	v_fma_f64 v[1:2], v[1:2], v[28:29], v[25:26]
	buffer_store_dword v28, off, s[52:55], 0 ; 4-byte Folded Spill
	buffer_store_dword v29, off, s[52:55], 0 offset:4 ; 4-byte Folded Spill
	buffer_store_dword v30, off, s[52:55], 0 offset:8 ; 4-byte Folded Spill
	;; [unrolled: 1-line block ×3, first 2 shown]
	v_fma_f64 v[5:6], v[5:6], v[102:103], v[58:59]
	buffer_store_dword v102, off, s[52:55], 0 offset:48 ; 4-byte Folded Spill
	buffer_store_dword v103, off, s[52:55], 0 offset:52 ; 4-byte Folded Spill
	;; [unrolled: 1-line block ×4, first 2 shown]
	s_waitcnt vmcnt(5)
	v_mul_f64 v[78:79], v[42:43], v[108:109]
	v_mul_f64 v[76:77], v[21:22], v[120:121]
	;; [unrolled: 1-line block ×3, first 2 shown]
	s_waitcnt vmcnt(4)
	v_mul_f64 v[82:83], v[46:47], v[112:113]
	v_fma_f64 v[9:10], v[9:10], v[94:95], v[62:63]
	s_waitcnt vmcnt(2)
	v_mul_f64 v[86:87], v[50:51], v[34:35]
	buffer_store_dword v94, off, s[52:55], 0 offset:16 ; 4-byte Folded Spill
	buffer_store_dword v95, off, s[52:55], 0 offset:20 ; 4-byte Folded Spill
	;; [unrolled: 1-line block ×4, first 2 shown]
	s_waitcnt vmcnt(0)
	v_mul_f64 v[90:91], v[54:55], v[38:39]
	v_fma_f64 v[13:14], v[13:14], v[98:99], v[66:67]
	buffer_store_dword v98, off, s[52:55], 0 offset:32 ; 4-byte Folded Spill
	buffer_store_dword v99, off, s[52:55], 0 offset:36 ; 4-byte Folded Spill
	;; [unrolled: 1-line block ×4, first 2 shown]
	v_fma_f64 v[17:18], v[17:18], v[114:115], v[70:71]
	buffer_store_dword v114, off, s[52:55], 0 offset:96 ; 4-byte Folded Spill
	buffer_store_dword v115, off, s[52:55], 0 offset:100 ; 4-byte Folded Spill
	;; [unrolled: 1-line block ×4, first 2 shown]
	v_mul_f64 v[84:85], v[44:45], v[112:113]
	v_mul_f64 v[88:89], v[48:49], v[34:35]
	v_fma_f64 v[21:22], v[21:22], v[118:119], v[74:75]
	buffer_store_dword v118, off, s[52:55], 0 offset:112 ; 4-byte Folded Spill
	buffer_store_dword v119, off, s[52:55], 0 offset:116 ; 4-byte Folded Spill
	;; [unrolled: 1-line block ×4, first 2 shown]
	v_mul_f64 v[92:93], v[52:53], v[38:39]
	v_fma_f64 v[40:41], v[40:41], v[106:107], v[78:79]
	buffer_store_dword v106, off, s[52:55], 0 offset:64 ; 4-byte Folded Spill
	buffer_store_dword v107, off, s[52:55], 0 offset:68 ; 4-byte Folded Spill
	buffer_store_dword v108, off, s[52:55], 0 offset:72 ; 4-byte Folded Spill
	buffer_store_dword v109, off, s[52:55], 0 offset:76 ; 4-byte Folded Spill
	v_fma_f64 v[44:45], v[44:45], v[110:111], v[82:83]
	buffer_store_dword v110, off, s[52:55], 0 offset:80 ; 4-byte Folded Spill
	buffer_store_dword v111, off, s[52:55], 0 offset:84 ; 4-byte Folded Spill
	buffer_store_dword v112, off, s[52:55], 0 offset:88 ; 4-byte Folded Spill
	buffer_store_dword v113, off, s[52:55], 0 offset:92 ; 4-byte Folded Spill
	;; [unrolled: 5-line block ×4, first 2 shown]
	v_lshlrev_b32_e32 v39, 4, v211
	s_load_dwordx4 s[8:11], s[2:3], 0x0
	s_load_dwordx2 s[2:3], s[4:5], 0x38
	v_add_nc_u32_e32 v26, v209, v39
	v_lshl_add_u32 v27, v255, 5, v39
	v_fma_f64 v[3:4], v[3:4], v[28:29], -v[56:57]
	v_fma_f64 v[7:8], v[7:8], v[102:103], -v[60:61]
	;; [unrolled: 1-line block ×9, first 2 shown]
                                        ; implicit-def: $vgpr88_vgpr89
	v_fma_f64 v[54:55], v[54:55], v[36:37], -v[92:93]
                                        ; implicit-def: $vgpr92_vgpr93
	ds_write_b128 v26, v[1:4]
	ds_write_b128 v26, v[5:8] offset:6240
	ds_write_b128 v26, v[9:12] offset:1248
	;; [unrolled: 1-line block ×9, first 2 shown]
	s_waitcnt lgkmcnt(0)
	s_waitcnt_vscnt null, 0x0
	s_barrier
	buffer_gl0_inv
	ds_read_b128 v[1:4], v26 offset:6240
	ds_read_b128 v[5:8], v26
	ds_read_b128 v[9:12], v26 offset:1248
	ds_read_b128 v[13:16], v26 offset:7488
	;; [unrolled: 1-line block ×8, first 2 shown]
	s_waitcnt lgkmcnt(0)
	s_barrier
	buffer_gl0_inv
	v_add_f64 v[56:57], v[5:6], -v[1:2]
	v_add_f64 v[58:59], v[7:8], -v[3:4]
	;; [unrolled: 1-line block ×10, first 2 shown]
	v_lshlrev_b16 v1, 1, v0
	v_add_co_u32 v3, null, 0x4e, v255
	v_add_co_u32 v2, null, 0x9c, v255
	v_and_b32_e32 v25, 0xffff, v1
	v_add_co_u32 v1, null, 0xea, v255
	v_lshl_add_u32 v202, v3, 5, v39
	v_lshl_add_u32 v204, v2, 5, v39
	;; [unrolled: 1-line block ×4, first 2 shown]
	v_fma_f64 v[4:5], v[5:6], 2.0, -v[56:57]
	v_fma_f64 v[6:7], v[7:8], 2.0, -v[58:59]
	;; [unrolled: 1-line block ×10, first 2 shown]
	ds_write_b128 v203, v[56:59] offset:16
	ds_write_b128 v202, v[13:16] offset:16
	;; [unrolled: 1-line block ×5, first 2 shown]
	ds_write_b128 v203, v[4:7]
	ds_write_b128 v202, v[8:11]
	;; [unrolled: 1-line block ×4, first 2 shown]
	ds_write_b128 v27, v[48:51] offset:9984
	s_waitcnt lgkmcnt(0)
	s_barrier
	buffer_gl0_inv
	ds_read_b128 v[48:51], v26
	ds_read_b128 v[44:47], v26 offset:1248
	ds_read_b128 v[76:79], v26 offset:8320
	;; [unrolled: 1-line block ×8, first 2 shown]
	s_and_saveexec_b32 s0, vcc_lo
	s_cbranch_execz .LBB0_3
; %bb.2:
	ds_read_b128 v[40:43], v26 offset:3744
	ds_read_b128 v[88:91], v26 offset:7904
	ds_read_b128 v[92:95], v26 offset:12064
.LBB0_3:
	s_or_b32 exec_lo, exec_lo, s0
	v_and_b32_e32 v201, 1, v255
	v_lshrrev_b32_e32 v28, 1, v3
	v_lshrrev_b32_e32 v29, 1, v2
	s_mov_b32 s0, 0xe8584caa
	s_mov_b32 s1, 0x3febb67a
	v_lshlrev_b32_e32 v0, 5, v201
	s_mov_b32 s5, 0xbfebb67a
	s_mov_b32 s4, s0
	v_lshrrev_b32_e32 v206, 1, v1
	s_clause 0x1
	global_load_dwordx4 v[64:67], v0, s[14:15]
	global_load_dwordx4 v[60:63], v0, s[14:15] offset:16
	v_lshrrev_b32_e32 v0, 1, v255
	s_waitcnt vmcnt(0) lgkmcnt(0)
	s_barrier
	buffer_gl0_inv
	v_mul_u32_u24_e32 v0, 6, v0
	v_or_b32_e32 v0, v0, v201
	v_lshl_add_u32 v210, v0, 4, v39
	v_mul_f64 v[4:5], v[86:87], v[66:67]
	v_mul_f64 v[6:7], v[78:79], v[62:63]
	v_mul_f64 v[8:9], v[84:85], v[66:67]
	v_mul_f64 v[10:11], v[76:77], v[62:63]
	v_mul_f64 v[12:13], v[82:83], v[66:67]
	v_mul_f64 v[14:15], v[58:59], v[62:63]
	v_mul_f64 v[16:17], v[80:81], v[66:67]
	v_mul_f64 v[18:19], v[56:57], v[62:63]
	v_mul_f64 v[20:21], v[70:71], v[66:67]
	v_mul_f64 v[22:23], v[74:75], v[62:63]
	v_mul_f64 v[24:25], v[68:69], v[66:67]
	v_mul_f64 v[96:97], v[72:73], v[62:63]
	v_mul_f64 v[98:99], v[90:91], v[66:67]
	v_mul_f64 v[100:101], v[94:95], v[62:63]
	v_mul_f64 v[102:103], v[88:89], v[66:67]
	v_mul_f64 v[104:105], v[92:93], v[62:63]
	v_fma_f64 v[4:5], v[84:85], v[64:65], -v[4:5]
	v_fma_f64 v[6:7], v[76:77], v[60:61], -v[6:7]
	v_fma_f64 v[8:9], v[86:87], v[64:65], v[8:9]
	v_fma_f64 v[10:11], v[78:79], v[60:61], v[10:11]
	v_fma_f64 v[12:13], v[80:81], v[64:65], -v[12:13]
	v_fma_f64 v[14:15], v[56:57], v[60:61], -v[14:15]
	v_fma_f64 v[16:17], v[82:83], v[64:65], v[16:17]
	v_fma_f64 v[18:19], v[58:59], v[60:61], v[18:19]
	;; [unrolled: 4-line block ×4, first 2 shown]
	v_add_f64 v[82:83], v[48:49], v[4:5]
	v_add_f64 v[74:75], v[4:5], v[6:7]
	v_add_f64 v[4:5], v[4:5], -v[6:7]
	v_add_f64 v[76:77], v[8:9], v[10:11]
	v_add_f64 v[86:87], v[8:9], -v[10:11]
	v_add_f64 v[2:3], v[12:13], v[14:15]
	v_add_f64 v[8:9], v[50:51], v[8:9]
	;; [unrolled: 1-line block ×13, first 2 shown]
	v_add_f64 v[16:17], v[16:17], -v[18:19]
	v_add_f64 v[12:13], v[12:13], -v[14:15]
	;; [unrolled: 1-line block ×5, first 2 shown]
	v_fma_f64 v[48:49], v[74:75], -0.5, v[48:49]
	v_add_f64 v[58:59], v[58:59], -v[68:69]
	v_fma_f64 v[50:51], v[76:77], -0.5, v[50:51]
	v_fma_f64 v[2:3], v[2:3], -0.5, v[44:45]
	;; [unrolled: 1-line block ×3, first 2 shown]
	v_add_f64 v[76:77], v[92:93], v[14:15]
	v_fma_f64 v[52:53], v[80:81], -0.5, v[52:53]
	v_add_f64 v[78:79], v[94:95], v[18:19]
	v_fma_f64 v[54:55], v[84:85], -0.5, v[54:55]
	;; [unrolled: 2-line block ×4, first 2 shown]
	v_add_f64 v[42:43], v[8:9], v[10:11]
	v_add_f64 v[46:47], v[98:99], v[56:57]
	;; [unrolled: 1-line block ×4, first 2 shown]
	v_fma_f64 v[72:73], v[86:87], s[0:1], v[48:49]
	v_fma_f64 v[84:85], v[86:87], s[4:5], v[48:49]
	v_fma_f64 v[74:75], v[4:5], s[4:5], v[50:51]
	v_fma_f64 v[86:87], v[4:5], s[0:1], v[50:51]
	v_fma_f64 v[92:93], v[16:17], s[0:1], v[2:3]
	v_fma_f64 v[96:97], v[16:17], s[4:5], v[2:3]
	v_fma_f64 v[94:95], v[12:13], s[4:5], v[104:105]
	v_fma_f64 v[98:99], v[12:13], s[0:1], v[104:105]
	v_fma_f64 v[48:49], v[24:25], s[0:1], v[52:53]
	v_fma_f64 v[52:53], v[24:25], s[4:5], v[52:53]
	v_fma_f64 v[50:51], v[20:21], s[4:5], v[54:55]
	v_fma_f64 v[54:55], v[20:21], s[0:1], v[54:55]
	v_fma_f64 v[104:105], v[70:71], s[0:1], v[80:81]
	v_fma_f64 v[88:89], v[70:71], s[4:5], v[80:81]
	v_fma_f64 v[106:107], v[58:59], s[4:5], v[6:7]
	v_fma_f64 v[90:91], v[58:59], s[0:1], v[6:7]
	v_mul_u32_u24_e32 v2, 6, v28
	v_mul_u32_u24_e32 v3, 6, v29
	v_or_b32_e32 v1, v2, v201
	v_or_b32_e32 v2, v3, v201
	v_lshl_add_u32 v207, v1, 4, v39
	v_lshl_add_u32 v208, v2, 4, v39
	ds_write_b128 v210, v[40:43]
	ds_write_b128 v210, v[72:75] offset:32
	ds_write_b128 v210, v[84:87] offset:64
	ds_write_b128 v207, v[76:79]
	ds_write_b128 v207, v[92:95] offset:32
	ds_write_b128 v207, v[96:99] offset:64
	;; [unrolled: 3-line block ×3, first 2 shown]
	s_and_saveexec_b32 s0, vcc_lo
	s_cbranch_execz .LBB0_5
; %bb.4:
	v_mul_u32_u24_e32 v0, 6, v206
	v_or_b32_e32 v0, v0, v201
	v_lshl_add_u32 v0, v0, 4, v39
	ds_write_b128 v0, v[100:103]
	ds_write_b128 v0, v[104:107] offset:32
	ds_write_b128 v0, v[88:91] offset:64
.LBB0_5:
	s_or_b32 exec_lo, exec_lo, s0
	v_cmp_gt_u16_e64 s0, 60, v255
	s_waitcnt lgkmcnt(0)
	s_barrier
	buffer_gl0_inv
                                        ; implicit-def: $vgpr108_vgpr109
	s_and_saveexec_b32 s1, s0
	s_cbranch_execz .LBB0_7
; %bb.6:
	ds_read_b128 v[40:43], v26
	ds_read_b128 v[72:75], v26 offset:960
	ds_read_b128 v[84:87], v26 offset:1920
	;; [unrolled: 1-line block ×12, first 2 shown]
.LBB0_7:
	s_or_b32 exec_lo, exec_lo, s1
	v_and_b32_e32 v0, 0xff, v255
	s_mov_b32 s18, 0x4267c47c
	s_mov_b32 s19, 0xbfddbe06
	;; [unrolled: 1-line block ×4, first 2 shown]
	v_mul_lo_u16 v0, 0xab, v0
	s_mov_b32 s17, 0x3fec55a7
	s_mov_b32 s7, 0xbfea55e2
	;; [unrolled: 1-line block ×4, first 2 shown]
	v_lshrrev_b16 v0, 10, v0
	s_mov_b32 s28, 0x66966769
	s_mov_b32 s29, 0xbfefc445
	;; [unrolled: 1-line block ×4, first 2 shown]
	buffer_store_dword v0, off, s[52:55], 0 offset:164 ; 4-byte Folded Spill
	v_mul_lo_u16 v0, v0, 6
	s_mov_b32 s22, 0x2ef20147
	s_mov_b32 s23, 0xbfedeba7
	;; [unrolled: 1-line block ×4, first 2 shown]
	v_sub_nc_u16 v0, v255, v0
	s_mov_b32 s38, 0x24c2f84
	s_mov_b32 s39, 0x3fe5384d
	;; [unrolled: 1-line block ×4, first 2 shown]
	v_and_b32_e32 v0, 0xff, v0
	s_mov_b32 s26, 0xd0032e0c
	s_mov_b32 s27, 0xbfe7f3cc
	;; [unrolled: 1-line block ×4, first 2 shown]
	buffer_store_dword v0, off, s[52:55], 0 offset:160 ; 4-byte Folded Spill
	v_mad_u64_u32 v[0:1], null, 0xc0, v0, s[14:15]
	s_mov_b32 s30, 0x93053d00
	s_mov_b32 s31, 0xbfef11f4
	;; [unrolled: 1-line block ×4, first 2 shown]
	s_clause 0x2
	global_load_dwordx4 v[56:59], v[0:1], off offset:64
	global_load_dwordx4 v[68:71], v[0:1], off offset:240
	;; [unrolled: 1-line block ×3, first 2 shown]
	s_mov_b32 s43, 0x3fddbe06
	s_mov_b32 s42, s18
	;; [unrolled: 1-line block ×4, first 2 shown]
	v_add_nc_u32_e32 v212, 0x2700, v27
	s_waitcnt vmcnt(2) lgkmcnt(11)
	v_mul_f64 v[2:3], v[72:73], v[58:59]
	v_mul_f64 v[4:5], v[74:75], v[58:59]
	v_fma_f64 v[199:200], v[74:75], v[56:57], v[2:3]
	v_fma_f64 v[197:198], v[72:73], v[56:57], -v[4:5]
	global_load_dwordx4 v[72:75], v[0:1], off offset:224
	s_waitcnt vmcnt(2) lgkmcnt(0)
	v_mul_f64 v[2:3], v[108:109], v[70:71]
	v_fma_f64 v[30:31], v[110:111], v[68:69], v[2:3]
	v_mul_f64 v[2:3], v[110:111], v[70:71]
	v_add_f64 v[8:9], v[199:200], -v[30:31]
	v_fma_f64 v[32:33], v[108:109], v[68:69], -v[2:3]
	s_waitcnt vmcnt(1)
	v_mul_f64 v[2:3], v[84:85], v[82:83]
	v_add_f64 v[14:15], v[199:200], v[30:31]
	v_mul_f64 v[10:11], v[8:9], s[18:19]
	v_add_f64 v[6:7], v[197:198], v[32:33]
	v_fma_f64 v[116:117], v[86:87], v[80:81], v[2:3]
	v_mul_f64 v[2:3], v[86:87], v[82:83]
	v_add_f64 v[16:17], v[197:198], -v[32:33]
	v_mul_f64 v[18:19], v[8:9], s[6:7]
	v_fma_f64 v[118:119], v[84:85], v[80:81], -v[2:3]
	v_mul_f64 v[12:13], v[16:17], s[18:19]
	v_mul_f64 v[20:21], v[16:17], s[6:7]
	s_waitcnt vmcnt(0)
	v_mul_f64 v[2:3], v[88:89], v[74:75]
	v_fma_f64 v[34:35], v[90:91], v[72:73], v[2:3]
	v_mul_f64 v[2:3], v[90:91], v[74:75]
	v_add_f64 v[160:161], v[116:117], v[34:35]
	v_fma_f64 v[36:37], v[88:89], v[72:73], -v[2:3]
	s_clause 0x1
	global_load_dwordx4 v[84:87], v[0:1], off offset:96
	global_load_dwordx4 v[88:91], v[0:1], off offset:112
	s_waitcnt vmcnt(1)
	v_mul_f64 v[2:3], v[76:77], v[86:87]
	v_fma_f64 v[144:145], v[78:79], v[84:85], v[2:3]
	v_mul_f64 v[2:3], v[78:79], v[86:87]
	v_fma_f64 v[146:147], v[76:77], v[84:85], -v[2:3]
	s_clause 0x5
	global_load_dwordx4 v[76:79], v[0:1], off offset:208
	global_load_dwordx4 v[249:252], v[0:1], off offset:192
	;; [unrolled: 1-line block ×6, first 2 shown]
	s_waitcnt vmcnt(5)
	v_mul_f64 v[2:3], v[104:105], v[78:79]
	s_waitcnt vmcnt(1)
	v_mul_f64 v[0:1], v[50:51], v[130:131]
	v_fma_f64 v[156:157], v[106:107], v[76:77], v[2:3]
	v_mul_f64 v[2:3], v[106:107], v[78:79]
	v_fma_f64 v[172:173], v[48:49], v[128:129], -v[0:1]
	v_mul_f64 v[0:1], v[48:49], v[130:131]
	v_add_f64 v[48:49], v[118:119], -v[36:37]
	v_add_f64 v[170:171], v[144:145], v[156:157]
	v_fma_f64 v[104:105], v[104:105], v[76:77], -v[2:3]
	v_mul_f64 v[2:3], v[92:93], v[90:91]
	v_fma_f64 v[178:179], v[50:51], v[128:129], v[0:1]
	s_waitcnt vmcnt(0)
	v_mul_f64 v[0:1], v[54:55], v[126:127]
	v_mul_f64 v[150:151], v[48:49], s[6:7]
	;; [unrolled: 1-line block ×4, first 2 shown]
	v_fma_f64 v[106:107], v[94:95], v[88:89], v[2:3]
	v_mul_f64 v[2:3], v[94:95], v[90:91]
	v_fma_f64 v[176:177], v[52:53], v[124:125], -v[0:1]
	v_mul_f64 v[0:1], v[52:53], v[126:127]
	v_fma_f64 v[4:5], v[160:161], s[4:5], -v[150:151]
	v_add_f64 v[52:53], v[146:147], -v[104:105]
	v_fma_f64 v[223:224], v[160:161], s[30:31], -v[237:238]
	v_fma_f64 v[92:93], v[92:93], v[88:89], -v[2:3]
	v_mul_f64 v[2:3], v[98:99], v[114:115]
	v_fma_f64 v[182:183], v[54:55], v[124:125], v[0:1]
	v_add_f64 v[54:55], v[116:117], -v[34:35]
	v_fma_f64 v[0:1], v[6:7], s[16:17], v[10:11]
	v_mul_f64 v[215:216], v[52:53], s[28:29]
	v_mul_f64 v[241:242], v[52:53], s[44:45]
	v_fma_f64 v[158:159], v[96:97], v[112:113], -v[2:3]
	v_mul_f64 v[2:3], v[96:97], v[114:115]
	v_mul_f64 v[148:149], v[54:55], s[6:7]
	v_add_f64 v[0:1], v[40:41], v[0:1]
	v_mul_f64 v[247:248], v[54:55], s[22:23]
	v_mul_f64 v[233:234], v[54:55], s[34:35]
	v_add_f64 v[168:169], v[158:159], v[176:177]
	v_fma_f64 v[98:99], v[98:99], v[112:113], v[2:3]
	v_mul_f64 v[2:3], v[100:101], v[251:252]
	v_add_f64 v[180:181], v[158:159], -v[176:177]
	v_add_f64 v[185:186], v[98:99], -v[182:183]
	v_fma_f64 v[94:95], v[102:103], v[249:250], v[2:3]
	v_mul_f64 v[2:3], v[102:103], v[251:252]
	v_add_f64 v[102:103], v[144:145], -v[156:157]
	v_add_f64 v[193:194], v[98:99], v[182:183]
	v_mul_f64 v[219:220], v[180:181], s[36:37]
	v_mul_f64 v[245:246], v[180:181], s[6:7]
	;; [unrolled: 1-line block ×3, first 2 shown]
	v_add_f64 v[162:163], v[106:107], -v[94:95]
	v_fma_f64 v[96:97], v[100:101], v[249:250], -v[2:3]
	v_mul_f64 v[2:3], v[46:47], v[122:123]
	v_mul_f64 v[152:153], v[102:103], s[28:29]
	v_add_f64 v[174:175], v[106:107], v[94:95]
	v_mul_f64 v[108:109], v[102:103], s[34:35]
	v_mul_f64 v[154:155], v[162:163], s[22:23]
	v_add_f64 v[50:51], v[92:93], v[96:97]
	v_fma_f64 v[164:165], v[44:45], v[120:121], -v[2:3]
	v_mul_f64 v[2:3], v[44:45], v[122:123]
	v_add_f64 v[44:45], v[118:119], v[36:37]
	v_add_f64 v[100:101], v[92:93], -v[96:97]
	v_mul_f64 v[110:111], v[162:163], s[38:39]
	v_mul_f64 v[235:236], v[162:163], s[42:43]
	v_add_f64 v[187:188], v[164:165], v[172:173]
	v_fma_f64 v[166:167], v[46:47], v[120:121], v[2:3]
	v_fma_f64 v[2:3], v[44:45], s[4:5], v[148:149]
	v_add_f64 v[46:47], v[146:147], v[104:105]
	v_mul_f64 v[213:214], v[100:101], s[22:23]
	v_add_f64 v[191:192], v[164:165], -v[172:173]
	v_fma_f64 v[140:141], v[44:45], s[30:31], v[233:234]
	v_fma_f64 v[227:228], v[50:51], s[16:17], v[235:236]
	v_mul_f64 v[243:244], v[100:101], s[42:43]
	v_add_f64 v[189:190], v[166:167], -v[178:179]
	v_add_f64 v[0:1], v[2:3], v[0:1]
	v_fma_f64 v[2:3], v[14:15], s[16:17], -v[12:13]
	v_add_f64 v[195:196], v[166:167], v[178:179]
	v_mul_f64 v[231:232], v[191:192], s[34:35]
	v_mul_f64 v[221:222], v[189:190], s[34:35]
	v_add_f64 v[2:3], v[42:43], v[2:3]
	v_add_f64 v[2:3], v[4:5], v[2:3]
	v_fma_f64 v[4:5], v[46:47], s[24:25], v[152:153]
	v_add_f64 v[0:1], v[4:5], v[0:1]
	v_fma_f64 v[4:5], v[170:171], s[24:25], -v[215:216]
	v_add_f64 v[2:3], v[4:5], v[2:3]
	v_fma_f64 v[4:5], v[50:51], s[20:21], v[154:155]
	v_add_f64 v[0:1], v[4:5], v[0:1]
	v_fma_f64 v[4:5], v[174:175], s[20:21], -v[213:214]
	;; [unrolled: 4-line block ×4, first 2 shown]
	v_fma_f64 v[4:5], v[160:161], s[20:21], -v[253:254]
	v_add_f64 v[134:135], v[0:1], v[2:3]
	v_fma_f64 v[0:1], v[6:7], s[4:5], v[18:19]
	v_fma_f64 v[2:3], v[44:45], s[20:21], v[247:248]
	v_add_f64 v[0:1], v[40:41], v[0:1]
	v_add_f64 v[0:1], v[2:3], v[0:1]
	v_fma_f64 v[2:3], v[14:15], s[4:5], -v[20:21]
	v_add_f64 v[2:3], v[42:43], v[2:3]
	v_add_f64 v[2:3], v[4:5], v[2:3]
	v_fma_f64 v[4:5], v[46:47], s[30:31], v[108:109]
	v_add_f64 v[0:1], v[4:5], v[0:1]
	v_mul_f64 v[4:5], v[52:53], s[34:35]
	buffer_store_dword v4, off, s[52:55], 0 offset:184 ; 4-byte Folded Spill
	buffer_store_dword v5, off, s[52:55], 0 offset:188 ; 4-byte Folded Spill
	v_fma_f64 v[4:5], v[170:171], s[30:31], -v[4:5]
	v_add_f64 v[2:3], v[4:5], v[2:3]
	v_fma_f64 v[4:5], v[50:51], s[26:27], v[110:111]
	v_add_f64 v[4:5], v[4:5], v[0:1]
	v_mul_f64 v[0:1], v[100:101], s[38:39]
	v_fma_f64 v[22:23], v[174:175], s[26:27], -v[0:1]
	v_add_f64 v[22:23], v[22:23], v[2:3]
	v_mul_f64 v[2:3], v[185:186], s[40:41]
	buffer_store_dword v2, off, s[52:55], 0 offset:168 ; 4-byte Folded Spill
	buffer_store_dword v3, off, s[52:55], 0 offset:172 ; 4-byte Folded Spill
	v_fma_f64 v[2:3], v[168:169], s[24:25], v[2:3]
	v_add_f64 v[4:5], v[2:3], v[4:5]
	v_mul_f64 v[2:3], v[180:181], s[40:41]
	v_fma_f64 v[24:25], v[193:194], s[24:25], -v[2:3]
	v_add_f64 v[22:23], v[24:25], v[22:23]
	v_mul_f64 v[24:25], v[189:190], s[42:43]
	buffer_store_dword v24, off, s[52:55], 0 offset:176 ; 4-byte Folded Spill
	buffer_store_dword v25, off, s[52:55], 0 offset:180 ; 4-byte Folded Spill
	s_waitcnt_vscnt null, 0x0
	s_barrier
	buffer_gl0_inv
	v_fma_f64 v[24:25], v[187:188], s[16:17], v[24:25]
	v_add_f64 v[136:137], v[24:25], v[4:5]
	v_mul_f64 v[4:5], v[191:192], s[42:43]
	v_fma_f64 v[24:25], v[195:196], s[16:17], -v[4:5]
	v_add_f64 v[138:139], v[24:25], v[22:23]
	v_mul_f64 v[22:23], v[8:9], s[28:29]
	v_fma_f64 v[24:25], v[6:7], s[24:25], v[22:23]
	v_add_f64 v[24:25], v[40:41], v[24:25]
	v_add_f64 v[140:141], v[140:141], v[24:25]
	v_mul_f64 v[24:25], v[16:17], s[28:29]
	v_fma_f64 v[142:143], v[14:15], s[24:25], -v[24:25]
	v_add_f64 v[142:143], v[42:43], v[142:143]
	v_add_f64 v[142:143], v[223:224], v[142:143]
	v_mul_f64 v[223:224], v[102:103], s[44:45]
	v_fma_f64 v[225:226], v[46:47], s[20:21], v[223:224]
	v_add_f64 v[140:141], v[225:226], v[140:141]
	v_fma_f64 v[225:226], v[170:171], s[20:21], -v[241:242]
	v_add_f64 v[140:141], v[227:228], v[140:141]
	v_add_f64 v[142:143], v[225:226], v[142:143]
	v_mul_f64 v[225:226], v[185:186], s[6:7]
	v_fma_f64 v[227:228], v[174:175], s[16:17], -v[243:244]
	v_fma_f64 v[229:230], v[168:169], s[4:5], v[225:226]
	v_add_f64 v[142:143], v[227:228], v[142:143]
	v_mul_f64 v[227:228], v[189:190], s[36:37]
	v_add_f64 v[140:141], v[229:230], v[140:141]
	v_fma_f64 v[229:230], v[193:194], s[4:5], -v[245:246]
	v_fma_f64 v[239:240], v[187:188], s[26:27], v[227:228]
	v_add_f64 v[142:143], v[229:230], v[142:143]
	v_mul_f64 v[229:230], v[191:192], s[36:37]
	v_add_f64 v[140:141], v[239:240], v[140:141]
	v_fma_f64 v[28:29], v[195:196], s[26:27], -v[229:230]
	v_add_f64 v[142:143], v[28:29], v[142:143]
	s_and_saveexec_b32 s1, s0
	s_cbranch_execz .LBB0_9
; %bb.8:
	buffer_store_dword v30, off, s[52:55], 0 offset:216 ; 4-byte Folded Spill
	buffer_store_dword v31, off, s[52:55], 0 offset:220 ; 4-byte Folded Spill
	;; [unrolled: 1-line block ×12, first 2 shown]
	v_mul_f64 v[27:28], v[14:15], s[30:31]
	v_mul_f64 v[31:32], v[14:15], s[26:27]
	v_mul_f64 v[35:36], v[14:15], s[20:21]
	s_mov_b32 s47, 0x3fcea1e5
	s_mov_b32 s46, s34
	buffer_store_dword v116, off, s[52:55], 0 offset:296 ; 4-byte Folded Spill
	buffer_store_dword v117, off, s[52:55], 0 offset:300 ; 4-byte Folded Spill
	;; [unrolled: 1-line block ×8, first 2 shown]
	v_mov_b32_e32 v133, v119
	v_mov_b32_e32 v132, v118
	buffer_store_dword v202, off, s[52:55], 0 offset:196 ; 4-byte Folded Spill
	v_mov_b32_e32 v239, v243
	v_mov_b32_e32 v240, v244
	;; [unrolled: 1-line block ×11, first 2 shown]
	v_fma_f64 v[29:30], v[16:17], s[46:47], v[27:28]
	v_fma_f64 v[27:28], v[16:17], s[34:35], v[27:28]
	;; [unrolled: 1-line block ×6, first 2 shown]
	v_mul_f64 v[35:36], v[14:15], s[24:25]
	v_mov_b32_e32 v234, v222
	v_mov_b32_e32 v235, v231
	;; [unrolled: 1-line block ×8, first 2 shown]
	v_add_f64 v[197:198], v[40:41], v[197:198]
	v_add_f64 v[199:200], v[42:43], v[199:200]
	s_mov_b32 s49, 0x3fea55e2
	s_mov_b32 s48, s6
	v_mov_b32_e32 v33, v210
	v_mov_b32_e32 v34, v211
	;; [unrolled: 1-line block ×4, first 2 shown]
	v_add_f64 v[27:28], v[42:43], v[27:28]
	v_mov_b32_e32 v135, v149
	v_mul_f64 v[148:149], v[189:190], s[40:41]
	v_add_f64 v[37:38], v[42:43], v[37:38]
	v_add_f64 v[24:25], v[24:25], v[35:36]
	v_mul_f64 v[35:36], v[6:7], s[24:25]
	v_add_f64 v[24:25], v[42:43], v[24:25]
	v_add_f64 v[22:23], v[35:36], -v[22:23]
	v_mul_f64 v[35:36], v[14:15], s[4:5]
	v_mul_f64 v[14:15], v[14:15], s[16:17]
	v_add_f64 v[22:23], v[40:41], v[22:23]
	v_add_f64 v[20:21], v[20:21], v[35:36]
	v_mul_f64 v[35:36], v[6:7], s[4:5]
	v_add_f64 v[12:13], v[12:13], v[14:15]
	v_mul_f64 v[14:15], v[6:7], s[16:17]
	v_add_f64 v[18:19], v[35:36], -v[18:19]
	v_mul_f64 v[35:36], v[8:9], s[36:37]
	v_add_f64 v[10:11], v[14:15], -v[10:11]
	v_mul_f64 v[14:15], v[8:9], s[34:35]
	v_mul_f64 v[8:9], v[8:9], s[22:23]
	v_add_f64 v[18:19], v[40:41], v[18:19]
	v_fma_f64 v[118:119], v[6:7], s[26:27], v[35:36]
	v_fma_f64 v[35:36], v[6:7], s[26:27], -v[35:36]
	v_fma_f64 v[116:117], v[6:7], s[30:31], v[14:15]
	v_fma_f64 v[14:15], v[6:7], s[30:31], -v[14:15]
	v_fma_f64 v[201:202], v[6:7], s[20:21], -v[8:9]
	v_fma_f64 v[6:7], v[6:7], s[20:21], v[8:9]
	v_add_f64 v[203:204], v[40:41], v[10:11]
	v_mul_f64 v[10:11], v[160:161], s[16:17]
	v_add_f64 v[8:9], v[42:43], v[29:30]
	v_add_f64 v[31:32], v[40:41], v[118:119]
	v_add_f64 v[118:119], v[42:43], v[16:17]
	v_add_f64 v[29:30], v[40:41], v[116:117]
	v_add_f64 v[14:15], v[40:41], v[14:15]
	v_add_f64 v[16:17], v[42:43], v[20:21]
	v_add_f64 v[20:21], v[42:43], v[12:13]
	v_add_f64 v[201:202], v[40:41], v[201:202]
	v_mul_f64 v[12:13], v[54:55], s[42:43]
	buffer_store_dword v31, off, s[52:55], 0 offset:280 ; 4-byte Folded Spill
	buffer_store_dword v32, off, s[52:55], 0 offset:284 ; 4-byte Folded Spill
	v_add_f64 v[31:32], v[42:43], v[146:147]
	v_add_f64 v[116:117], v[42:43], v[144:145]
	v_mov_b32_e32 v43, v205
	v_mul_f64 v[146:147], v[195:196], s[24:25]
	buffer_store_dword v31, off, s[52:55], 0 offset:264 ; 4-byte Folded Spill
	buffer_store_dword v32, off, s[52:55], 0 offset:268 ; 4-byte Folded Spill
	v_add_f64 v[31:32], v[40:41], v[35:36]
	v_mov_b32_e32 v35, v104
	v_mov_b32_e32 v36, v105
	;; [unrolled: 1-line block ×7, first 2 shown]
	buffer_store_dword v31, off, s[52:55], 0 offset:272 ; 4-byte Folded Spill
	buffer_store_dword v32, off, s[52:55], 0 offset:276 ; 4-byte Folded Spill
	;; [unrolled: 1-line block ×3, first 2 shown]
	v_mov_b32_e32 v255, v39
	v_add_f64 v[39:40], v[40:41], v[6:7]
	v_fma_f64 v[6:7], v[48:49], s[18:19], v[10:11]
	v_mov_b32_e32 v155, v216
	v_mov_b32_e32 v215, v206
	;; [unrolled: 1-line block ×16, first 2 shown]
	v_fma_f64 v[10:11], v[48:49], s[42:43], v[10:11]
	v_mov_b32_e32 v218, v209
	v_add_f64 v[6:7], v[6:7], v[8:9]
	v_fma_f64 v[8:9], v[44:45], s[16:17], v[12:13]
	v_fma_f64 v[12:13], v[44:45], s[16:17], -v[12:13]
	v_add_f64 v[10:11], v[10:11], v[27:28]
	v_fma_f64 v[27:28], v[187:188], s[24:25], -v[148:149]
	v_add_f64 v[8:9], v[8:9], v[29:30]
	v_mul_f64 v[29:30], v[170:171], s[26:27]
	v_add_f64 v[12:13], v[12:13], v[14:15]
	v_fma_f64 v[41:42], v[52:53], s[38:39], v[29:30]
	v_fma_f64 v[14:15], v[52:53], s[36:37], v[29:30]
	v_mul_f64 v[29:30], v[170:171], s[30:31]
	v_add_f64 v[6:7], v[41:42], v[6:7]
	v_mul_f64 v[41:42], v[102:103], s[36:37]
	v_add_f64 v[10:11], v[14:15], v[10:11]
	v_fma_f64 v[205:206], v[46:47], s[26:27], v[41:42]
	v_fma_f64 v[14:15], v[46:47], s[26:27], -v[41:42]
	v_mul_f64 v[41:42], v[46:47], s[30:31]
	v_add_f64 v[8:9], v[205:206], v[8:9]
	v_mul_f64 v[205:206], v[174:175], s[4:5]
	v_add_f64 v[12:13], v[14:15], v[12:13]
	v_add_f64 v[41:42], v[41:42], -v[108:109]
	v_fma_f64 v[207:208], v[100:101], s[6:7], v[205:206]
	v_fma_f64 v[14:15], v[100:101], s[48:49], v[205:206]
	v_mov_b32_e32 v205, v43
	v_mov_b32_e32 v206, v215
	v_add_f64 v[6:7], v[207:208], v[6:7]
	v_mul_f64 v[207:208], v[162:163], s[48:49]
	v_add_f64 v[10:11], v[14:15], v[10:11]
	v_fma_f64 v[209:210], v[50:51], s[4:5], v[207:208]
	v_fma_f64 v[14:15], v[50:51], s[4:5], -v[207:208]
	v_mov_b32_e32 v208, v217
	v_mov_b32_e32 v207, v216
	v_add_f64 v[8:9], v[209:210], v[8:9]
	v_mul_f64 v[209:210], v[193:194], s[20:21]
	v_add_f64 v[12:13], v[14:15], v[12:13]
	v_fma_f64 v[211:212], v[180:181], s[44:45], v[209:210]
	v_fma_f64 v[14:15], v[180:181], s[22:23], v[209:210]
	v_mov_b32_e32 v210, v33
	v_mov_b32_e32 v209, v218
	v_add_f64 v[6:7], v[211:212], v[6:7]
	v_mul_f64 v[211:212], v[185:186], s[22:23]
	v_add_f64 v[10:11], v[14:15], v[10:11]
	v_fma_f64 v[14:15], v[168:169], s[20:21], -v[211:212]
	v_fma_f64 v[144:145], v[168:169], s[20:21], v[211:212]
	v_mov_b32_e32 v211, v34
	s_clause 0x1
	buffer_load_dword v33, off, s[52:55], 0 offset:184
	buffer_load_dword v34, off, s[52:55], 0 offset:188
	v_mov_b32_e32 v212, v219
	v_add_f64 v[14:15], v[14:15], v[12:13]
	v_fma_f64 v[12:13], v[191:192], s[40:41], v[146:147]
	v_add_f64 v[144:145], v[144:145], v[8:9]
	v_fma_f64 v[8:9], v[191:192], s[28:29], v[146:147]
	v_mul_f64 v[146:147], v[193:194], s[24:25]
	v_add_f64 v[12:13], v[12:13], v[10:11]
	v_add_f64 v[10:11], v[27:28], v[14:15]
	v_mul_f64 v[14:15], v[160:161], s[20:21]
	v_mul_f64 v[27:28], v[44:45], s[20:21]
	v_add_f64 v[8:9], v[8:9], v[6:7]
	v_fma_f64 v[6:7], v[187:188], s[24:25], v[148:149]
	v_add_f64 v[2:3], v[2:3], v[146:147]
	v_add_f64 v[14:15], v[253:254], v[14:15]
	v_add_f64 v[27:28], v[27:28], -v[247:248]
	v_add_f64 v[6:7], v[6:7], v[144:145]
	v_mul_f64 v[144:145], v[174:175], s[26:27]
	v_add_f64 v[14:15], v[14:15], v[16:17]
	v_add_f64 v[16:17], v[27:28], v[18:19]
	s_clause 0x1
	buffer_load_dword v27, off, s[52:55], 0 offset:168
	buffer_load_dword v28, off, s[52:55], 0 offset:172
	v_mul_f64 v[18:19], v[168:169], s[24:25]
	v_add_f64 v[0:1], v[0:1], v[144:145]
	v_mul_f64 v[144:145], v[50:51], s[26:27]
	v_add_f64 v[16:17], v[41:42], v[16:17]
	v_add_f64 v[144:145], v[144:145], -v[110:111]
	s_waitcnt vmcnt(2)
	v_add_f64 v[29:30], v[33:34], v[29:30]
	v_add_f64 v[14:15], v[29:30], v[14:15]
	v_mul_f64 v[29:30], v[50:51], s[20:21]
	v_add_f64 v[0:1], v[0:1], v[14:15]
	v_add_f64 v[14:15], v[144:145], v[16:17]
	v_mul_f64 v[16:17], v[187:188], s[16:17]
	v_add_f64 v[29:30], v[29:30], -v[227:228]
	v_add_f64 v[0:1], v[2:3], v[0:1]
	s_waitcnt vmcnt(0)
	v_add_f64 v[18:19], v[18:19], -v[27:28]
	v_mul_f64 v[27:28], v[195:196], s[16:17]
	v_add_f64 v[14:15], v[18:19], v[14:15]
	v_add_f64 v[4:5], v[4:5], v[27:28]
	s_clause 0x1
	buffer_load_dword v27, off, s[52:55], 0 offset:176
	buffer_load_dword v28, off, s[52:55], 0 offset:180
	v_mul_f64 v[18:19], v[46:47], s[24:25]
	v_add_f64 v[2:3], v[4:5], v[0:1]
	v_mul_f64 v[4:5], v[160:161], s[4:5]
	v_add_f64 v[18:19], v[18:19], -v[152:153]
	v_add_f64 v[4:5], v[150:151], v[4:5]
	v_add_f64 v[4:5], v[4:5], v[20:21]
	v_mul_f64 v[20:21], v[193:194], s[26:27]
	v_add_f64 v[20:21], v[231:232], v[20:21]
	s_waitcnt vmcnt(0)
	v_add_f64 v[16:17], v[16:17], -v[27:28]
	v_mul_f64 v[27:28], v[174:175], s[20:21]
	v_add_f64 v[0:1], v[16:17], v[14:15]
	v_mul_f64 v[14:15], v[44:45], s[4:5]
	v_mul_f64 v[16:17], v[170:171], s[24:25]
	v_add_f64 v[27:28], v[213:214], v[27:28]
	v_add_f64 v[14:15], v[14:15], -v[134:135]
	v_add_f64 v[16:17], v[154:155], v[16:17]
	v_add_f64 v[14:15], v[14:15], v[203:204]
	;; [unrolled: 1-line block ×3, first 2 shown]
	v_mul_f64 v[16:17], v[168:169], s[26:27]
	v_mov_b32_e32 v204, v221
	v_mov_b32_e32 v203, v220
	v_add_f64 v[14:15], v[18:19], v[14:15]
	v_add_f64 v[4:5], v[27:28], v[4:5]
	v_mul_f64 v[18:19], v[195:196], s[30:31]
	v_add_f64 v[16:17], v[16:17], -v[229:230]
	v_add_f64 v[14:15], v[29:30], v[14:15]
	v_add_f64 v[4:5], v[20:21], v[4:5]
	;; [unrolled: 1-line block ×3, first 2 shown]
	v_mul_f64 v[20:21], v[187:188], s[30:31]
	v_mul_f64 v[29:30], v[54:55], s[38:39]
	;; [unrolled: 1-line block ×3, first 2 shown]
	v_add_f64 v[14:15], v[16:17], v[14:15]
	v_add_f64 v[16:17], v[18:19], v[4:5]
	v_add_f64 v[20:21], v[20:21], -v[233:234]
	v_mul_f64 v[4:5], v[160:161], s[30:31]
	v_mul_f64 v[18:19], v[44:45], s[30:31]
	v_fma_f64 v[41:42], v[44:45], s[26:27], -v[29:30]
	v_fma_f64 v[29:30], v[44:45], s[26:27], v[29:30]
	v_add_f64 v[14:15], v[20:21], v[14:15]
	v_add_f64 v[4:5], v[237:238], v[4:5]
	v_mul_f64 v[20:21], v[170:171], s[20:21]
	v_add_f64 v[18:19], v[18:19], -v[164:165]
	v_add_f64 v[41:42], v[41:42], v[201:202]
	v_add_f64 v[29:30], v[29:30], v[39:40]
	v_mul_f64 v[39:40], v[185:186], s[42:43]
	v_mov_b32_e32 v201, v222
	v_add_f64 v[4:5], v[4:5], v[24:25]
	v_add_f64 v[20:21], v[241:242], v[20:21]
	v_mul_f64 v[24:25], v[46:47], s[20:21]
	v_add_f64 v[18:19], v[18:19], v[22:23]
	v_mul_f64 v[22:23], v[174:175], s[16:17]
	v_add_f64 v[4:5], v[20:21], v[4:5]
	v_add_f64 v[24:25], v[24:25], -v[223:224]
	v_mul_f64 v[20:21], v[50:51], s[16:17]
	v_add_f64 v[22:23], v[239:240], v[22:23]
	v_add_f64 v[18:19], v[24:25], v[18:19]
	v_add_f64 v[20:21], v[20:21], -v[225:226]
	v_mul_f64 v[24:25], v[193:194], s[4:5]
	v_add_f64 v[4:5], v[22:23], v[4:5]
	v_mul_f64 v[22:23], v[168:169], s[4:5]
	v_add_f64 v[18:19], v[20:21], v[18:19]
	v_add_f64 v[24:25], v[245:246], v[24:25]
	v_mul_f64 v[20:21], v[195:196], s[26:27]
	v_add_f64 v[22:23], v[22:23], -v[156:157]
	v_add_f64 v[4:5], v[24:25], v[4:5]
	v_add_f64 v[20:21], v[106:107], v[20:21]
	v_mul_f64 v[24:25], v[187:188], s[26:27]
	v_add_f64 v[18:19], v[22:23], v[18:19]
	v_add_f64 v[22:23], v[197:198], v[132:133]
	;; [unrolled: 1-line block ×3, first 2 shown]
	v_add_f64 v[24:25], v[24:25], -v[104:105]
	s_clause 0x1
	buffer_load_dword v4, off, s[52:55], 0 offset:296
	buffer_load_dword v5, off, s[52:55], 0 offset:300
	v_add_f64 v[18:19], v[24:25], v[18:19]
	s_clause 0x5
	buffer_load_dword v132, off, s[52:55], 0 offset:200
	buffer_load_dword v133, off, s[52:55], 0 offset:204
	buffer_load_dword v134, off, s[52:55], 0 offset:208
	buffer_load_dword v135, off, s[52:55], 0 offset:212
	buffer_load_dword v24, off, s[52:55], 0 offset:232
	buffer_load_dword v25, off, s[52:55], 0 offset:236
	s_waitcnt vmcnt(6)
	v_add_f64 v[4:5], v[199:200], v[4:5]
	s_waitcnt vmcnt(0)
	v_add_f64 v[4:5], v[4:5], v[24:25]
	s_clause 0x1
	buffer_load_dword v24, off, s[52:55], 0 offset:240
	buffer_load_dword v25, off, s[52:55], 0 offset:244
	v_add_f64 v[4:5], v[4:5], v[92:93]
	v_mul_f64 v[92:93], v[170:171], s[16:17]
	v_add_f64 v[4:5], v[4:5], v[98:99]
	v_add_f64 v[4:5], v[4:5], v[166:167]
	v_add_f64 v[4:5], v[4:5], v[178:179]
	v_add_f64 v[4:5], v[4:5], v[182:183]
	v_add_f64 v[4:5], v[4:5], v[96:97]
	v_add_f64 v[4:5], v[4:5], v[243:244]
	s_waitcnt vmcnt(0)
	v_add_f64 v[22:23], v[22:23], v[24:25]
	s_clause 0x2
	buffer_load_dword v24, off, s[52:55], 0 offset:288
	buffer_load_dword v25, off, s[52:55], 0 offset:292
	;; [unrolled: 1-line block ×3, first 2 shown]
	v_add_f64 v[22:23], v[22:23], v[94:95]
	v_fma_f64 v[94:95], v[52:53], s[42:43], v[92:93]
	v_add_f64 v[22:23], v[22:23], v[158:159]
	s_waitcnt vmcnt(1)
	v_add_f64 v[22:23], v[22:23], v[24:25]
	v_mul_f64 v[24:25], v[160:161], s[26:27]
	v_add_f64 v[22:23], v[22:23], v[172:173]
	v_fma_f64 v[27:28], v[48:49], s[38:39], v[24:25]
	v_fma_f64 v[24:25], v[48:49], s[36:37], v[24:25]
	v_add_f64 v[22:23], v[22:23], v[176:177]
	v_add_f64 v[27:28], v[27:28], v[118:119]
	;; [unrolled: 1-line block ×4, first 2 shown]
	s_clause 0x1
	buffer_load_dword v31, off, s[52:55], 0 offset:256
	buffer_load_dword v32, off, s[52:55], 0 offset:260
	v_add_f64 v[27:28], v[94:95], v[27:28]
	v_mul_f64 v[94:95], v[102:103], s[42:43]
	v_add_f64 v[22:23], v[22:23], v[35:36]
	v_fma_f64 v[96:97], v[46:47], s[16:17], -v[94:95]
	v_fma_f64 v[37:38], v[46:47], s[16:17], v[94:95]
	v_add_f64 v[41:42], v[96:97], v[41:42]
	v_mul_f64 v[96:97], v[174:175], s[24:25]
	v_add_f64 v[29:30], v[37:38], v[29:30]
	v_fma_f64 v[98:99], v[100:101], s[28:29], v[96:97]
	v_add_f64 v[27:28], v[98:99], v[27:28]
	v_mul_f64 v[98:99], v[162:163], s[28:29]
	v_fma_f64 v[104:105], v[50:51], s[24:25], -v[98:99]
	v_add_f64 v[41:42], v[104:105], v[41:42]
	v_mul_f64 v[104:105], v[193:194], s[30:31]
	v_fma_f64 v[106:107], v[180:181], s[46:47], v[104:105]
	v_add_f64 v[27:28], v[106:107], v[27:28]
	v_mul_f64 v[106:107], v[185:186], s[46:47]
	v_fma_f64 v[118:119], v[168:169], s[30:31], -v[106:107]
	v_add_f64 v[118:119], v[118:119], v[41:42]
	v_mul_f64 v[41:42], v[160:161], s[24:25]
	v_fma_f64 v[144:145], v[48:49], s[28:29], v[41:42]
	v_fma_f64 v[41:42], v[48:49], s[40:41], v[41:42]
	v_add_f64 v[33:34], v[144:145], v[116:117]
	v_fma_f64 v[144:145], v[44:45], s[24:25], v[54:55]
	s_waitcnt vmcnt(0)
	v_add_f64 v[4:5], v[4:5], v[31:32]
	s_clause 0x1
	buffer_load_dword v31, off, s[52:55], 0 offset:248
	buffer_load_dword v32, off, s[52:55], 0 offset:252
	s_waitcnt vmcnt(0)
	v_add_f64 v[22:23], v[22:23], v[31:32]
	s_clause 0x1
	buffer_load_dword v31, off, s[52:55], 0 offset:280
	buffer_load_dword v32, off, s[52:55], 0 offset:284
	;; [unrolled: 5-line block ×3, first 2 shown]
	buffer_load_dword v35, off, s[52:55], 0 offset:272
	buffer_load_dword v36, off, s[52:55], 0 offset:276
	s_waitcnt vmcnt(2)
	v_add_f64 v[31:32], v[41:42], v[31:32]
	v_fma_f64 v[41:42], v[44:45], s[24:25], -v[54:55]
	s_waitcnt vmcnt(0)
	v_add_f64 v[35:36], v[41:42], v[35:36]
	v_mul_f64 v[41:42], v[170:171], s[4:5]
	v_fma_f64 v[54:55], v[52:53], s[48:49], v[41:42]
	v_fma_f64 v[41:42], v[52:53], s[6:7], v[41:42]
	v_add_f64 v[33:34], v[54:55], v[33:34]
	v_mul_f64 v[54:55], v[102:103], s[6:7]
	v_add_f64 v[31:32], v[41:42], v[31:32]
	v_fma_f64 v[41:42], v[46:47], s[4:5], -v[54:55]
	v_fma_f64 v[102:103], v[46:47], s[4:5], v[54:55]
	v_fma_f64 v[45:46], v[168:169], s[16:17], v[39:40]
	;; [unrolled: 1-line block ×3, first 2 shown]
	v_fma_f64 v[39:40], v[168:169], s[16:17], -v[39:40]
	v_add_f64 v[35:36], v[41:42], v[35:36]
	v_mul_f64 v[41:42], v[174:175], s[30:31]
	v_add_f64 v[102:103], v[102:103], v[116:117]
	v_add_f64 v[29:30], v[47:48], v[29:30]
	v_fma_f64 v[54:55], v[100:101], s[34:35], v[41:42]
	v_fma_f64 v[41:42], v[100:101], s[46:47], v[41:42]
	v_add_f64 v[33:34], v[54:55], v[33:34]
	v_mul_f64 v[54:55], v[162:163], s[46:47]
	v_add_f64 v[31:32], v[41:42], v[31:32]
	v_mul_f64 v[41:42], v[193:194], s[16:17]
	v_fma_f64 v[116:117], v[50:51], s[30:31], v[54:55]
	v_fma_f64 v[43:44], v[180:181], s[18:19], v[41:42]
	;; [unrolled: 1-line block ×4, first 2 shown]
	v_add_f64 v[102:103], v[116:117], v[102:103]
	v_add_f64 v[33:34], v[43:44], v[33:34]
	v_fma_f64 v[43:44], v[52:53], s[18:19], v[92:93]
	v_add_f64 v[31:32], v[37:38], v[31:32]
	v_fma_f64 v[37:38], v[180:181], s[34:35], v[104:105]
	v_add_f64 v[29:30], v[41:42], v[29:30]
	v_add_f64 v[52:53], v[45:46], v[102:103]
	v_fma_f64 v[45:46], v[100:101], s[40:41], v[96:97]
	v_add_f64 v[24:25], v[43:44], v[24:25]
	v_fma_f64 v[43:44], v[50:51], s[30:31], -v[54:55]
	v_add_f64 v[24:25], v[45:46], v[24:25]
	v_add_f64 v[35:36], v[43:44], v[35:36]
	v_mul_f64 v[43:44], v[195:196], s[20:21]
	v_mul_f64 v[45:46], v[195:196], s[4:5]
	v_add_f64 v[37:38], v[37:38], v[24:25]
	v_mul_f64 v[24:25], v[189:190], s[22:23]
	v_add_f64 v[35:36], v[39:40], v[35:36]
	v_fma_f64 v[47:48], v[191:192], s[44:45], v[43:44]
	v_fma_f64 v[49:50], v[191:192], s[22:23], v[43:44]
	;; [unrolled: 1-line block ×3, first 2 shown]
	v_mul_f64 v[43:44], v[189:190], s[48:49]
	v_fma_f64 v[54:55], v[191:192], s[6:7], v[45:46]
	v_fma_f64 v[92:93], v[187:188], s[20:21], -v[24:25]
	v_fma_f64 v[94:95], v[187:188], s[20:21], v[24:25]
	s_clause 0x1
	buffer_load_dword v24, off, s[52:55], 0 offset:216
	buffer_load_dword v25, off, s[52:55], 0 offset:220
	v_add_f64 v[50:51], v[49:50], v[31:32]
	v_fma_f64 v[45:46], v[187:188], s[4:5], -v[43:44]
	v_fma_f64 v[96:97], v[187:188], s[4:5], v[43:44]
	v_add_f64 v[42:43], v[39:40], v[27:28]
	v_mov_b32_e32 v39, v255
	v_add_f64 v[54:55], v[54:55], v[37:38]
	v_add_f64 v[40:41], v[45:46], v[118:119]
	v_add_f64 v[46:47], v[47:48], v[33:34]
	v_add_f64 v[48:49], v[92:93], v[35:36]
	v_add_f64 v[44:45], v[94:95], v[52:53]
	v_add_f64 v[52:53], v[96:97], v[29:30]
	s_waitcnt vmcnt(0)
	v_add_f64 v[24:25], v[4:5], v[24:25]
	s_clause 0x2
	buffer_load_dword v4, off, s[52:55], 0 offset:224
	buffer_load_dword v5, off, s[52:55], 0 offset:228
	;; [unrolled: 1-line block ×3, first 2 shown]
	s_waitcnt vmcnt(1)
	v_add_f64 v[22:23], v[22:23], v[4:5]
	buffer_load_dword v5, off, s[52:55], 0 offset:164 ; 4-byte Folded Reload
	v_mov_b32_e32 v4, 0x4e
	s_waitcnt vmcnt(0)
	v_mul_u32_u24_sdwa v4, v5, v4 dst_sel:DWORD dst_unused:UNUSED_PAD src0_sel:WORD_0 src1_sel:DWORD
	buffer_load_dword v5, off, s[52:55], 0 offset:160 ; 4-byte Folded Reload
	s_waitcnt vmcnt(0)
	v_add_nc_u32_e32 v4, v4, v5
	v_lshl_add_u32 v4, v4, 4, v39
	ds_write_b128 v4, v[22:25]
	ds_write_b128 v4, v[14:17] offset:96
	ds_write_b128 v4, v[0:3] offset:192
	;; [unrolled: 1-line block ×12, first 2 shown]
.LBB0_9:
	s_or_b32 exec_lo, exec_lo, s1
	v_lshlrev_b32_e32 v0, 6, v255
	s_waitcnt lgkmcnt(0)
	s_waitcnt_vscnt null, 0x0
	s_barrier
	buffer_gl0_inv
	s_mov_b32 s16, 0x134454ff
	s_clause 0x3
	global_load_dwordx4 v[52:55], v0, s[14:15] offset:1216
	global_load_dwordx4 v[48:51], v0, s[14:15] offset:1232
	;; [unrolled: 1-line block ×4, first 2 shown]
	ds_read_b128 v[1:4], v26 offset:2496
	ds_read_b128 v[5:8], v26 offset:4992
	;; [unrolled: 1-line block ×8, first 2 shown]
	s_mov_b32 s17, 0x3fee6f0e
	s_mov_b32 s19, 0xbfee6f0e
	;; [unrolled: 1-line block ×9, first 2 shown]
	v_add_co_u32 v0, s1, s14, v0
	s_waitcnt vmcnt(3) lgkmcnt(7)
	v_mul_f64 v[27:28], v[3:4], v[54:55]
	s_waitcnt vmcnt(2) lgkmcnt(6)
	v_mul_f64 v[31:32], v[7:8], v[50:51]
	v_mul_f64 v[33:34], v[5:6], v[50:51]
	s_waitcnt vmcnt(1) lgkmcnt(5)
	v_mul_f64 v[35:36], v[11:12], v[46:47]
	s_waitcnt vmcnt(0) lgkmcnt(4)
	v_mul_f64 v[100:101], v[15:16], v[42:43]
	v_mul_f64 v[29:30], v[1:2], v[54:55]
	;; [unrolled: 1-line block ×4, first 2 shown]
	s_waitcnt lgkmcnt(3)
	v_mul_f64 v[104:105], v[19:20], v[54:55]
	v_fma_f64 v[27:28], v[1:2], v[52:53], -v[27:28]
	v_fma_f64 v[31:32], v[5:6], v[48:49], -v[31:32]
	v_fma_f64 v[33:34], v[7:8], v[48:49], v[33:34]
	s_waitcnt lgkmcnt(1)
	v_mul_f64 v[7:8], v[94:95], v[46:47]
	v_fma_f64 v[9:10], v[9:10], v[44:45], -v[35:36]
	v_fma_f64 v[13:14], v[13:14], v[40:41], -v[100:101]
	v_fma_f64 v[29:30], v[3:4], v[52:53], v[29:30]
	v_mul_f64 v[1:2], v[17:18], v[54:55]
	v_mul_f64 v[3:4], v[23:24], v[50:51]
	;; [unrolled: 1-line block ×3, first 2 shown]
	v_fma_f64 v[11:12], v[11:12], v[44:45], v[37:38]
	v_mul_f64 v[35:36], v[92:93], v[46:47]
	v_fma_f64 v[15:16], v[15:16], v[40:41], v[102:103]
	s_waitcnt lgkmcnt(0)
	v_mul_f64 v[37:38], v[98:99], v[42:43]
	v_mul_f64 v[100:101], v[96:97], v[42:43]
	v_fma_f64 v[17:18], v[17:18], v[52:53], -v[104:105]
	v_fma_f64 v[144:145], v[92:93], v[44:45], -v[7:8]
	v_add_f64 v[92:93], v[31:32], v[9:10]
	v_add_f64 v[102:103], v[27:28], v[13:14]
	v_add_f64 v[116:117], v[13:14], -v[9:10]
	v_fma_f64 v[19:20], v[19:20], v[52:53], v[1:2]
	v_fma_f64 v[21:22], v[21:22], v[48:49], -v[3:4]
	ds_read_b128 v[1:4], v26
	v_fma_f64 v[23:24], v[23:24], v[48:49], v[5:6]
	ds_read_b128 v[5:8], v26 offset:1248
	v_fma_f64 v[35:36], v[94:95], v[44:45], v[35:36]
	v_fma_f64 v[37:38], v[96:97], v[40:41], -v[37:38]
	v_fma_f64 v[146:147], v[98:99], v[40:41], v[100:101]
	v_add_f64 v[94:95], v[33:34], v[11:12]
	v_add_f64 v[104:105], v[29:30], v[15:16]
	v_add_f64 v[106:107], v[15:16], -v[11:12]
	s_waitcnt lgkmcnt(0)
	s_barrier
	buffer_gl0_inv
	v_add_f64 v[96:97], v[3:4], v[29:30]
	v_fma_f64 v[98:99], v[92:93], -0.5, v[1:2]
	v_fma_f64 v[102:103], v[102:103], -0.5, v[1:2]
	v_add_f64 v[1:2], v[1:2], v[27:28]
	v_fma_f64 v[100:101], v[94:95], -0.5, v[3:4]
	v_fma_f64 v[3:4], v[104:105], -0.5, v[3:4]
	v_add_f64 v[104:105], v[29:30], -v[15:16]
	v_add_f64 v[92:93], v[96:97], v[33:34]
	v_add_f64 v[96:97], v[29:30], -v[33:34]
	v_add_f64 v[29:30], v[33:34], -v[29:30]
	v_add_f64 v[1:2], v[1:2], v[31:32]
	v_add_f64 v[33:34], v[33:34], -v[11:12]
	v_add_f64 v[92:93], v[92:93], v[11:12]
	;; [unrolled: 2-line block ×3, first 2 shown]
	v_add_f64 v[94:95], v[92:93], v[15:16]
	v_add_f64 v[15:16], v[27:28], -v[13:14]
	v_add_f64 v[11:12], v[29:30], v[11:12]
	v_add_f64 v[92:93], v[1:2], v[13:14]
	v_add_f64 v[1:2], v[27:28], -v[31:32]
	v_add_f64 v[27:28], v[31:32], -v[27:28]
	;; [unrolled: 1-line block ×4, first 2 shown]
	v_fma_f64 v[29:30], v[104:105], s[18:19], v[98:99]
	v_add_f64 v[31:32], v[96:97], v[106:107]
	v_fma_f64 v[96:97], v[33:34], s[18:19], v[102:103]
	v_add_f64 v[1:2], v[1:2], v[116:117]
	v_add_f64 v[13:14], v[27:28], v[13:14]
	v_fma_f64 v[27:28], v[104:105], s[16:17], v[98:99]
	v_fma_f64 v[98:99], v[33:34], s[16:17], v[102:103]
	;; [unrolled: 1-line block ×12, first 2 shown]
	v_add_f64 v[15:16], v[21:22], v[144:145]
	v_fma_f64 v[96:97], v[1:2], s[4:5], v[29:30]
	v_fma_f64 v[104:105], v[13:14], s[4:5], v[106:107]
	v_add_f64 v[29:30], v[35:36], -v[146:147]
	v_fma_f64 v[33:34], v[9:10], s[20:21], v[33:34]
	v_fma_f64 v[9:10], v[9:10], s[6:7], v[100:101]
	;; [unrolled: 1-line block ×3, first 2 shown]
	v_add_f64 v[1:2], v[23:24], v[35:36]
	v_fma_f64 v[106:107], v[11:12], s[4:5], v[118:119]
	v_fma_f64 v[118:119], v[11:12], s[4:5], v[3:4]
	v_add_f64 v[3:4], v[19:20], v[146:147]
	v_add_f64 v[11:12], v[7:8], v[19:20]
	v_fma_f64 v[116:117], v[13:14], s[4:5], v[116:117]
	v_fma_f64 v[13:14], v[15:16], -0.5, v[5:6]
	v_add_f64 v[27:28], v[146:147], -v[35:36]
	v_fma_f64 v[102:103], v[31:32], s[4:5], v[33:34]
	v_fma_f64 v[98:99], v[31:32], s[4:5], v[9:10]
	v_add_f64 v[9:10], v[17:18], v[37:38]
	v_fma_f64 v[15:16], v[1:2], -0.5, v[7:8]
	v_add_f64 v[1:2], v[5:6], v[17:18]
	v_add_f64 v[33:34], v[17:18], -v[37:38]
	v_fma_f64 v[7:8], v[3:4], -0.5, v[7:8]
	v_add_f64 v[3:4], v[11:12], v[23:24]
	v_add_f64 v[11:12], v[19:20], -v[146:147]
	v_add_f64 v[31:32], v[17:18], -v[21:22]
	;; [unrolled: 1-line block ×3, first 2 shown]
	v_fma_f64 v[9:10], v[9:10], -0.5, v[5:6]
	v_add_f64 v[5:6], v[19:20], -v[23:24]
	v_add_f64 v[1:2], v[1:2], v[21:22]
	v_add_f64 v[19:20], v[23:24], -v[19:20]
	v_add_f64 v[23:24], v[23:24], -v[35:36]
	v_add_f64 v[3:4], v[3:4], v[35:36]
	v_add_f64 v[35:36], v[37:38], -v[144:145]
	v_add_f64 v[21:22], v[21:22], -v[144:145]
	v_add_f64 v[27:28], v[5:6], v[27:28]
	v_fma_f64 v[5:6], v[11:12], s[16:17], v[13:14]
	v_fma_f64 v[13:14], v[11:12], s[18:19], v[13:14]
	v_add_f64 v[1:2], v[1:2], v[144:145]
	v_add_f64 v[19:20], v[19:20], v[29:30]
	v_fma_f64 v[29:30], v[23:24], s[18:19], v[9:10]
	v_fma_f64 v[9:10], v[23:24], s[16:17], v[9:10]
	v_add_f64 v[31:32], v[31:32], v[35:36]
	v_fma_f64 v[35:36], v[21:22], s[16:17], v[7:8]
	v_fma_f64 v[7:8], v[21:22], s[18:19], v[7:8]
	v_add_f64 v[3:4], v[3:4], v[146:147]
	v_fma_f64 v[5:6], v[23:24], s[6:7], v[5:6]
	v_fma_f64 v[13:14], v[23:24], s[20:21], v[13:14]
	v_fma_f64 v[23:24], v[33:34], s[18:19], v[15:16]
	v_add_f64 v[1:2], v[1:2], v[37:38]
	v_add_f64 v[37:38], v[144:145], -v[37:38]
	v_fma_f64 v[15:16], v[33:34], s[16:17], v[15:16]
	v_fma_f64 v[35:36], v[33:34], s[20:21], v[35:36]
	;; [unrolled: 1-line block ×5, first 2 shown]
	v_add_f64 v[17:18], v[17:18], v[37:38]
	v_fma_f64 v[15:16], v[21:22], s[6:7], v[15:16]
	v_fma_f64 v[21:22], v[11:12], s[6:7], v[29:30]
	;; [unrolled: 1-line block ×5, first 2 shown]
	v_mul_i32_i24_e32 v24, 0xffffffd0, v255
	v_mul_hi_i32_i24_e32 v23, 0xffffffd0, v255
	v_fma_f64 v[11:12], v[27:28], s[4:5], v[15:16]
	v_fma_f64 v[13:14], v[17:18], s[4:5], v[21:22]
	;; [unrolled: 1-line block ×3, first 2 shown]
	v_add_co_ci_u32_e64 v21, null, s15, 0, s1
	v_fma_f64 v[17:18], v[17:18], s[4:5], v[29:30]
	v_fma_f64 v[19:20], v[19:20], s[4:5], v[33:34]
	v_add_co_u32 v24, s1, v0, v24
	v_add_co_ci_u32_e64 v23, s1, v21, v23, s1
	ds_write_b128 v26, v[92:95]
	ds_write_b128 v26, v[1:4] offset:6240
	ds_write_b128 v26, v[100:103] offset:1248
	;; [unrolled: 1-line block ×9, first 2 shown]
	v_add_co_u32 v21, s1, 0x1800, v24
	v_add_co_ci_u32_e64 v22, s1, 0, v23, s1
	s_waitcnt lgkmcnt(0)
	s_barrier
	buffer_gl0_inv
	global_load_dwordx4 v[92:95], v[21:22], off offset:64
	v_add_co_u32 v0, s1, 0x2000, v24
	v_add_co_ci_u32_e64 v1, s1, 0, v23, s1
	s_clause 0x2
	global_load_dwordx4 v[100:103], v[21:22], off offset:1312
	global_load_dwordx4 v[96:99], v[0:1], off offset:512
	;; [unrolled: 1-line block ×3, first 2 shown]
	v_add_co_u32 v0, s1, 0x2800, v24
	v_add_co_ci_u32_e64 v1, s1, 0, v23, s1
	global_load_dwordx4 v[116:119], v[0:1], off offset:960
	ds_read_b128 v[0:3], v26 offset:6240
	ds_read_b128 v[4:7], v26 offset:7488
	;; [unrolled: 1-line block ×4, first 2 shown]
	s_waitcnt vmcnt(4) lgkmcnt(3)
	v_mul_f64 v[16:17], v[2:3], v[94:95]
	v_mul_f64 v[18:19], v[0:1], v[94:95]
	s_waitcnt vmcnt(3) lgkmcnt(2)
	v_mul_f64 v[20:21], v[6:7], v[102:103]
	v_mul_f64 v[22:23], v[4:5], v[102:103]
	;; [unrolled: 3-line block ×3, first 2 shown]
	v_fma_f64 v[16:17], v[0:1], v[92:93], -v[16:17]
	v_fma_f64 v[18:19], v[2:3], v[92:93], v[18:19]
	ds_read_b128 v[0:3], v26 offset:9984
	v_fma_f64 v[20:21], v[4:5], v[100:101], -v[20:21]
	v_fma_f64 v[22:23], v[6:7], v[100:101], v[22:23]
	ds_read_b128 v[4:7], v26 offset:11232
	v_fma_f64 v[24:25], v[8:9], v[96:97], -v[24:25]
	v_fma_f64 v[27:28], v[10:11], v[96:97], v[27:28]
	s_waitcnt vmcnt(1) lgkmcnt(1)
	v_mul_f64 v[29:30], v[2:3], v[106:107]
	v_mul_f64 v[8:9], v[0:1], v[106:107]
	s_waitcnt vmcnt(0) lgkmcnt(0)
	v_mul_f64 v[10:11], v[6:7], v[118:119]
	v_fma_f64 v[29:30], v[0:1], v[104:105], -v[29:30]
	v_mul_f64 v[0:1], v[4:5], v[118:119]
	v_fma_f64 v[31:32], v[2:3], v[104:105], v[8:9]
	v_fma_f64 v[33:34], v[4:5], v[116:117], -v[10:11]
	v_fma_f64 v[35:36], v[6:7], v[116:117], v[0:1]
	ds_read_b128 v[0:3], v26
	ds_read_b128 v[4:7], v26 offset:1248
	v_add_f64 v[156:157], v[12:13], -v[33:34]
	s_waitcnt lgkmcnt(1)
	v_add_f64 v[8:9], v[0:1], -v[16:17]
	v_add_f64 v[10:11], v[2:3], -v[18:19]
	s_waitcnt lgkmcnt(0)
	v_add_f64 v[16:17], v[4:5], -v[20:21]
	v_add_f64 v[18:19], v[6:7], -v[22:23]
	ds_read_b128 v[20:23], v26 offset:2496
	ds_read_b128 v[144:147], v26 offset:3744
	v_add_f64 v[158:159], v[14:15], -v[35:36]
	v_fma_f64 v[12:13], v[12:13], 2.0, -v[156:157]
	v_fma_f64 v[0:1], v[0:1], 2.0, -v[8:9]
	s_waitcnt lgkmcnt(1)
	v_add_f64 v[148:149], v[20:21], -v[24:25]
	v_add_f64 v[150:151], v[22:23], -v[27:28]
	s_waitcnt lgkmcnt(0)
	v_add_f64 v[152:153], v[144:145], -v[29:30]
	v_add_f64 v[154:155], v[146:147], -v[31:32]
	v_fma_f64 v[2:3], v[2:3], 2.0, -v[10:11]
	v_fma_f64 v[4:5], v[4:5], 2.0, -v[16:17]
	;; [unrolled: 1-line block ×4, first 2 shown]
	ds_write_b128 v26, v[8:11] offset:6240
	ds_write_b128 v26, v[16:19] offset:7488
	ds_write_b128 v26, v[0:3]
	v_fma_f64 v[20:21], v[20:21], 2.0, -v[148:149]
	v_fma_f64 v[22:23], v[22:23], 2.0, -v[150:151]
	;; [unrolled: 1-line block ×4, first 2 shown]
	v_lshlrev_b32_e32 v0, 4, v255
	v_add_co_u32 v1, s1, s12, v0
	v_add_co_ci_u32_e64 v2, null, s13, 0, s1
	v_lshl_add_u32 v0, v211, 4, v209
	v_add_co_u32 v8, s1, 0x3000, v1
	v_add_co_ci_u32_e64 v9, s1, 0, v2, s1
	ds_write_b128 v26, v[4:7] offset:1248
	ds_write_b128 v26, v[20:23] offset:2496
	;; [unrolled: 1-line block ×7, first 2 shown]
	s_waitcnt lgkmcnt(0)
	s_barrier
	buffer_gl0_inv
	global_load_dwordx4 v[3:6], v[8:9], off offset:192
	v_add_co_u32 v15, s1, 0x4800, v1
	v_add_co_ci_u32_e64 v16, s1, 0, v2, s1
	v_add_co_u32 v11, s1, 0x30c0, v1
	v_add_co_ci_u32_e64 v12, s1, 0, v2, s1
	s_clause 0x2
	global_load_dwordx4 v[7:10], v[15:16], off offset:288
	global_load_dwordx4 v[11:14], v[11:12], off offset:1248
	global_load_dwordx4 v[15:18], v[15:16], off offset:1536
	ds_read_b128 v[19:22], v26
	ds_read_b128 v[144:147], v26 offset:1248
	s_waitcnt vmcnt(3) lgkmcnt(1)
	v_mul_f64 v[23:24], v[21:22], v[5:6]
	v_mul_f64 v[5:6], v[19:20], v[5:6]
	v_fma_f64 v[19:20], v[19:20], v[3:4], -v[23:24]
	v_fma_f64 v[21:22], v[21:22], v[3:4], v[5:6]
	ds_read_b128 v[3:6], v26 offset:6240
	ds_read_b128 v[148:151], v26 offset:4992
	s_waitcnt vmcnt(2) lgkmcnt(1)
	v_mul_f64 v[23:24], v[5:6], v[9:10]
	v_mul_f64 v[9:10], v[3:4], v[9:10]
	v_fma_f64 v[3:4], v[3:4], v[7:8], -v[23:24]
	v_fma_f64 v[5:6], v[5:6], v[7:8], v[9:10]
	s_waitcnt vmcnt(1)
	v_mul_f64 v[7:8], v[146:147], v[13:14]
	v_mul_f64 v[9:10], v[144:145], v[13:14]
	v_fma_f64 v[7:8], v[144:145], v[11:12], -v[7:8]
	v_fma_f64 v[9:10], v[146:147], v[11:12], v[9:10]
	ds_read_b128 v[11:14], v26 offset:7488
	ds_read_b128 v[144:147], v26 offset:8736
	s_waitcnt vmcnt(0) lgkmcnt(1)
	v_mul_f64 v[23:24], v[13:14], v[17:18]
	v_mul_f64 v[17:18], v[11:12], v[17:18]
	v_fma_f64 v[11:12], v[11:12], v[15:16], -v[23:24]
	v_add_co_u32 v23, s1, 0x3800, v1
	v_add_co_ci_u32_e64 v24, s1, 0, v2, s1
	v_fma_f64 v[13:14], v[13:14], v[15:16], v[17:18]
	s_clause 0x1
	global_load_dwordx4 v[15:18], v[23:24], off offset:640
	global_load_dwordx4 v[152:155], v[23:24], off offset:1888
	ds_read_b128 v[156:159], v26 offset:2496
	ds_read_b128 v[160:163], v26 offset:3744
	s_waitcnt vmcnt(1) lgkmcnt(1)
	v_mul_f64 v[23:24], v[158:159], v[17:18]
	v_mul_f64 v[17:18], v[156:157], v[17:18]
	v_fma_f64 v[156:157], v[156:157], v[15:16], -v[23:24]
	v_add_co_u32 v23, s1, 0x5000, v1
	v_add_co_ci_u32_e64 v24, s1, 0, v2, s1
	v_fma_f64 v[158:159], v[158:159], v[15:16], v[17:18]
	s_clause 0x1
	global_load_dwordx4 v[15:18], v[23:24], off offset:736
	global_load_dwordx4 v[164:167], v[23:24], off offset:1984
	s_waitcnt vmcnt(1)
	v_mul_f64 v[23:24], v[146:147], v[17:18]
	v_mul_f64 v[17:18], v[144:145], v[17:18]
	v_fma_f64 v[144:145], v[144:145], v[15:16], -v[23:24]
	v_fma_f64 v[146:147], v[146:147], v[15:16], v[17:18]
	s_waitcnt lgkmcnt(0)
	v_mul_f64 v[15:16], v[162:163], v[154:155]
	v_mul_f64 v[17:18], v[160:161], v[154:155]
	v_fma_f64 v[15:16], v[160:161], v[152:153], -v[15:16]
	v_fma_f64 v[17:18], v[162:163], v[152:153], v[17:18]
	ds_read_b128 v[152:155], v26 offset:9984
	ds_read_b128 v[160:163], v26 offset:11232
	s_waitcnt vmcnt(0) lgkmcnt(1)
	v_mul_f64 v[23:24], v[154:155], v[166:167]
	v_mul_f64 v[27:28], v[152:153], v[166:167]
	v_fma_f64 v[152:153], v[152:153], v[164:165], -v[23:24]
	v_add_co_u32 v23, s1, 0x4000, v1
	v_add_co_ci_u32_e64 v24, s1, 0, v2, s1
	v_add_co_u32 v1, s1, 0x5800, v1
	v_add_co_ci_u32_e64 v2, s1, 0, v2, s1
	v_fma_f64 v[154:155], v[154:155], v[164:165], v[27:28]
	s_clause 0x1
	global_load_dwordx4 v[164:167], v[23:24], off offset:1088
	global_load_dwordx4 v[168:171], v[1:2], off offset:1184
	s_waitcnt vmcnt(1)
	v_mul_f64 v[1:2], v[150:151], v[166:167]
	v_mul_f64 v[23:24], v[148:149], v[166:167]
	v_fma_f64 v[148:149], v[148:149], v[164:165], -v[1:2]
	v_fma_f64 v[150:151], v[150:151], v[164:165], v[23:24]
	s_waitcnt vmcnt(0) lgkmcnt(0)
	v_mul_f64 v[1:2], v[162:163], v[170:171]
	v_mul_f64 v[23:24], v[160:161], v[170:171]
	v_fma_f64 v[160:161], v[160:161], v[168:169], -v[1:2]
	v_fma_f64 v[162:163], v[162:163], v[168:169], v[23:24]
	ds_write_b128 v26, v[19:22]
	ds_write_b128 v26, v[3:6] offset:6240
	ds_write_b128 v26, v[7:10] offset:1248
	;; [unrolled: 1-line block ×9, first 2 shown]
	s_waitcnt lgkmcnt(0)
	s_barrier
	buffer_gl0_inv
	ds_read_b128 v[1:4], v26 offset:6240
	ds_read_b128 v[5:8], v26
	ds_read_b128 v[9:12], v26 offset:1248
	ds_read_b128 v[13:16], v26 offset:7488
	;; [unrolled: 1-line block ×8, first 2 shown]
	s_waitcnt lgkmcnt(0)
	s_barrier
	buffer_gl0_inv
	v_add_f64 v[1:2], v[5:6], -v[1:2]
	v_add_f64 v[3:4], v[7:8], -v[3:4]
	v_add_f64 v[13:14], v[9:10], -v[13:14]
	v_add_f64 v[15:16], v[11:12], -v[15:16]
	v_add_f64 v[21:22], v[17:18], -v[21:22]
	v_add_f64 v[23:24], v[19:20], -v[23:24]
	v_add_f64 v[160:161], v[152:153], -v[144:145]
	v_add_f64 v[162:163], v[154:155], -v[146:147]
	v_add_f64 v[144:145], v[148:149], -v[156:157]
	v_add_f64 v[146:147], v[150:151], -v[158:159]
	v_fma_f64 v[5:6], v[5:6], 2.0, -v[1:2]
	v_fma_f64 v[7:8], v[7:8], 2.0, -v[3:4]
	;; [unrolled: 1-line block ×10, first 2 shown]
	ds_write_b128 v203, v[1:4] offset:16
	ds_write_b128 v202, v[13:16] offset:16
	;; [unrolled: 1-line block ×5, first 2 shown]
	ds_write_b128 v203, v[5:8]
	ds_write_b128 v202, v[9:12]
	;; [unrolled: 1-line block ×5, first 2 shown]
	s_waitcnt lgkmcnt(0)
	s_barrier
	buffer_gl0_inv
	ds_read_b128 v[148:151], v26
	ds_read_b128 v[152:155], v26 offset:1248
	ds_read_b128 v[160:163], v26 offset:8320
	;; [unrolled: 1-line block ×8, first 2 shown]
	s_and_saveexec_b32 s1, vcc_lo
	s_cbranch_execz .LBB0_11
; %bb.10:
	ds_read_b128 v[144:147], v26 offset:3744
	ds_read_b128 v[140:143], v26 offset:7904
	;; [unrolled: 1-line block ×3, first 2 shown]
.LBB0_11:
	s_or_b32 exec_lo, exec_lo, s1
	s_waitcnt lgkmcnt(4)
	v_mul_f64 v[1:2], v[66:67], v[182:183]
	v_mul_f64 v[3:4], v[66:67], v[180:181]
	;; [unrolled: 1-line block ×4, first 2 shown]
	s_waitcnt lgkmcnt(2)
	v_mul_f64 v[9:10], v[66:67], v[178:179]
	v_mul_f64 v[11:12], v[62:63], v[166:167]
	;; [unrolled: 1-line block ×4, first 2 shown]
	s_waitcnt lgkmcnt(1)
	v_mul_f64 v[17:18], v[66:67], v[170:171]
	s_waitcnt lgkmcnt(0)
	v_mul_f64 v[19:20], v[62:63], v[174:175]
	v_mul_f64 v[21:22], v[66:67], v[168:169]
	;; [unrolled: 1-line block ×7, first 2 shown]
	s_mov_b32 s4, 0xe8584caa
	s_mov_b32 s5, 0xbfebb67a
	;; [unrolled: 1-line block ×4, first 2 shown]
	s_barrier
	v_fma_f64 v[1:2], v[64:65], v[180:181], v[1:2]
	v_fma_f64 v[3:4], v[64:65], v[182:183], -v[3:4]
	v_fma_f64 v[5:6], v[60:61], v[160:161], v[5:6]
	v_fma_f64 v[7:8], v[60:61], v[162:163], -v[7:8]
	v_fma_f64 v[9:10], v[64:65], v[176:177], v[9:10]
	v_fma_f64 v[11:12], v[60:61], v[164:165], v[11:12]
	v_fma_f64 v[13:14], v[64:65], v[178:179], -v[13:14]
	v_fma_f64 v[15:16], v[60:61], v[166:167], -v[15:16]
	v_fma_f64 v[17:18], v[64:65], v[168:169], v[17:18]
	v_fma_f64 v[19:20], v[60:61], v[172:173], v[19:20]
	v_fma_f64 v[21:22], v[64:65], v[170:171], -v[21:22]
	;; [unrolled: 4-line block ×3, first 2 shown]
	v_fma_f64 v[33:34], v[60:61], v[138:139], -v[33:34]
	buffer_gl0_inv
	v_add_f64 v[66:67], v[148:149], v[1:2]
	v_add_f64 v[35:36], v[1:2], v[5:6]
	;; [unrolled: 1-line block ×3, first 2 shown]
	v_add_f64 v[138:139], v[3:4], -v[7:8]
	v_add_f64 v[60:61], v[9:10], v[11:12]
	v_add_f64 v[3:4], v[150:151], v[3:4]
	;; [unrolled: 1-line block ×3, first 2 shown]
	v_add_f64 v[1:2], v[1:2], -v[5:6]
	v_add_f64 v[64:65], v[17:18], v[19:20]
	v_add_f64 v[160:161], v[152:153], v[9:10]
	;; [unrolled: 1-line block ×10, first 2 shown]
	v_add_f64 v[13:14], v[13:14], -v[15:16]
	v_add_f64 v[9:10], v[9:10], -v[11:12]
	;; [unrolled: 1-line block ×5, first 2 shown]
	v_fma_f64 v[35:36], v[35:36], -0.5, v[148:149]
	v_fma_f64 v[37:38], v[37:38], -0.5, v[150:151]
	v_add_f64 v[27:28], v[27:28], -v[29:30]
	v_fma_f64 v[172:173], v[60:61], -0.5, v[152:153]
	v_add_f64 v[60:61], v[66:67], v[5:6]
	v_fma_f64 v[174:175], v[62:63], -0.5, v[154:155]
	v_add_f64 v[62:63], v[3:4], v[7:8]
	;; [unrolled: 2-line block ×6, first 2 shown]
	v_add_f64 v[160:161], v[168:169], v[29:30]
	v_add_f64 v[162:163], v[170:171], v[33:34]
	v_fma_f64 v[64:65], v[138:139], s[4:5], v[35:36]
	v_fma_f64 v[144:145], v[138:139], s[6:7], v[35:36]
	;; [unrolled: 1-line block ×16, first 2 shown]
	ds_write_b128 v210, v[60:63]
	ds_write_b128 v210, v[64:67] offset:32
	ds_write_b128 v210, v[144:147] offset:64
	ds_write_b128 v207, v[148:151]
	ds_write_b128 v207, v[152:155] offset:32
	ds_write_b128 v207, v[156:159] offset:64
	ds_write_b128 v208, v[164:167]
	ds_write_b128 v208, v[172:175] offset:32
	ds_write_b128 v208, v[168:171] offset:64
	s_and_saveexec_b32 s1, vcc_lo
	s_cbranch_execz .LBB0_13
; %bb.12:
	v_mul_u32_u24_e32 v1, 6, v206
	v_or_b32_e32 v1, v1, v201
	v_lshl_add_u32 v1, v1, 4, v39
	ds_write_b128 v1, v[160:163]
	ds_write_b128 v1, v[136:139] offset:32
	ds_write_b128 v1, v[140:143] offset:64
.LBB0_13:
	s_or_b32 exec_lo, exec_lo, s1
	s_waitcnt lgkmcnt(0)
	s_barrier
	buffer_gl0_inv
	s_and_saveexec_b32 s1, s0
	s_cbranch_execz .LBB0_15
; %bb.14:
	ds_read_b128 v[60:63], v26
	ds_read_b128 v[64:67], v26 offset:960
	ds_read_b128 v[144:147], v26 offset:1920
	;; [unrolled: 1-line block ×12, first 2 shown]
.LBB0_15:
	s_or_b32 exec_lo, exec_lo, s1
	v_add_nc_u32_e32 v231, 0x9c0, v0
	v_add_nc_u32_e32 v232, 0xea0, v0
	;; [unrolled: 1-line block ×3, first 2 shown]
	s_waitcnt lgkmcnt(0)
	s_barrier
	buffer_gl0_inv
	s_and_saveexec_b32 s33, s0
	s_cbranch_execz .LBB0_17
; %bb.16:
	v_mul_f64 v[0:1], v[122:123], v[166:167]
	v_mul_f64 v[2:3], v[58:59], v[64:65]
	;; [unrolled: 1-line block ×3, first 2 shown]
	s_mov_b32 s6, 0x4bc48dbf
	s_mov_b32 s7, 0xbfcea1e5
	s_mov_b32 s0, 0x93053d00
	s_mov_b32 s27, 0x3fddbe06
	s_mov_b32 s26, 0x4267c47c
	s_mov_b32 s1, 0xbfef11f4
	s_mov_b32 s4, 0xe00740e9
	s_mov_b32 s5, 0x3fec55a7
	s_mov_b32 s14, 0x24c2f84
	s_mov_b32 s15, 0xbfe5384d
	s_mov_b32 s12, 0xd0032e0c
	s_mov_b32 s13, 0xbfe7f3cc
	s_mov_b32 s34, 0x42a4c3d2
	s_mov_b32 s35, 0x3fea55e2
	s_mov_b32 s16, 0x1ea71119
	s_mov_b32 s17, 0x3fe22d96
	s_mov_b32 s18, 0xb2365da1
	s_mov_b32 s19, 0xbfd6b1d8
	s_mov_b32 s28, 0x66966769
	v_fma_f64 v[176:177], v[120:121], v[164:165], v[0:1]
	v_mul_f64 v[0:1], v[122:123], v[164:165]
	v_fma_f64 v[187:188], v[56:57], v[66:67], -v[2:3]
	v_mul_f64 v[2:3], v[70:71], v[132:133]
	s_mov_b32 s29, 0x3fefc445
	s_mov_b32 s20, 0xebaa3ed8
	;; [unrolled: 1-line block ×11, first 2 shown]
	v_fma_f64 v[164:165], v[120:121], v[166:167], -v[0:1]
	v_mul_f64 v[0:1], v[130:131], v[174:175]
	v_fma_f64 v[110:111], v[68:69], v[134:135], -v[2:3]
	v_mul_f64 v[2:3], v[78:79], v[138:139]
	v_fma_f64 v[120:121], v[128:129], v[172:173], v[0:1]
	v_mul_f64 v[0:1], v[130:131], v[172:173]
	v_add_f64 v[195:196], v[187:188], v[110:111]
	v_add_f64 v[219:220], v[187:188], -v[110:111]
	v_fma_f64 v[122:123], v[128:129], v[174:175], -v[0:1]
	v_mul_f64 v[0:1], v[114:115], v[158:159]
	v_fma_f64 v[128:129], v[112:113], v[156:157], v[0:1]
	v_mul_f64 v[0:1], v[114:115], v[156:157]
	v_fma_f64 v[130:131], v[112:113], v[158:159], -v[0:1]
	v_mul_f64 v[0:1], v[126:127], v[170:171]
	v_fma_f64 v[112:113], v[124:125], v[168:169], v[0:1]
	v_mul_f64 v[0:1], v[126:127], v[168:169]
	v_add_f64 v[182:183], v[128:129], -v[112:113]
	v_fma_f64 v[114:115], v[124:125], v[170:171], -v[0:1]
	v_mul_f64 v[0:1], v[90:91], v[154:155]
	v_mul_f64 v[205:206], v[182:183], s[38:39]
	v_add_f64 v[156:157], v[130:131], v[114:115]
	v_fma_f64 v[124:125], v[88:89], v[152:153], v[0:1]
	v_mul_f64 v[0:1], v[90:91], v[152:153]
	v_add_f64 v[180:181], v[130:131], -v[114:115]
	v_fma_f64 v[126:127], v[88:89], v[154:155], -v[0:1]
	v_mul_f64 v[0:1], v[251:252], v[162:163]
	v_add_f64 v[154:155], v[164:165], -v[122:123]
	v_mul_f64 v[215:216], v[180:181], s[38:39]
	v_fma_f64 v[88:89], v[249:250], v[160:161], v[0:1]
	v_mul_f64 v[0:1], v[251:252], v[160:161]
	v_add_f64 v[160:161], v[176:177], -v[120:121]
	v_mul_f64 v[193:194], v[154:155], s[34:35]
	v_add_f64 v[191:192], v[124:125], -v[88:89]
	v_fma_f64 v[90:91], v[249:250], v[162:163], -v[0:1]
	v_mul_f64 v[0:1], v[86:87], v[150:151]
	v_add_f64 v[166:167], v[124:125], v[88:89]
	v_add_f64 v[162:163], v[128:129], v[112:113]
	v_mul_f64 v[197:198], v[160:161], s[34:35]
	v_mul_f64 v[203:204], v[191:192], s[30:31]
	v_add_f64 v[158:159], v[126:127], v[90:91]
	v_fma_f64 v[152:153], v[84:85], v[148:149], v[0:1]
	v_mul_f64 v[0:1], v[86:87], v[148:149]
	v_add_f64 v[189:190], v[126:127], -v[90:91]
	v_mul_f64 v[223:224], v[191:192], s[26:27]
	v_fma_f64 v[148:149], v[84:85], v[150:151], -v[0:1]
	v_mul_f64 v[0:1], v[82:83], v[146:147]
	v_mul_f64 v[213:214], v[189:190], s[30:31]
	;; [unrolled: 1-line block ×3, first 2 shown]
	v_fma_f64 v[150:151], v[80:81], v[144:145], v[0:1]
	v_mul_f64 v[0:1], v[82:83], v[144:145]
	v_fma_f64 v[174:175], v[80:81], v[146:147], -v[0:1]
	v_mul_f64 v[0:1], v[58:59], v[66:67]
	v_fma_f64 v[185:186], v[56:57], v[64:65], v[0:1]
	v_mul_f64 v[0:1], v[70:71], v[134:135]
	v_fma_f64 v[86:87], v[68:69], v[132:133], v[0:1]
	;; [unrolled: 2-line block ×4, first 2 shown]
	v_add_f64 v[207:208], v[185:186], -v[86:87]
	v_fma_f64 v[134:135], v[72:73], v[142:143], -v[0:1]
	v_add_f64 v[108:109], v[150:151], -v[132:133]
	v_fma_f64 v[170:171], v[76:77], v[138:139], -v[4:5]
	v_add_f64 v[217:218], v[185:186], v[86:87]
	v_add_f64 v[136:137], v[150:151], v[132:133]
	v_add_f64 v[178:179], v[152:153], -v[140:141]
	v_add_f64 v[146:147], v[152:153], v[140:141]
	v_add_f64 v[142:143], v[164:165], v[122:123]
	;; [unrolled: 1-line block ×3, first 2 shown]
	v_mul_f64 v[0:1], v[207:208], s[6:7]
	v_add_f64 v[84:85], v[174:175], v[134:135]
	v_mul_f64 v[2:3], v[108:109], s[26:27]
	v_add_f64 v[168:169], v[174:175], -v[134:135]
	v_add_f64 v[144:145], v[148:149], v[170:171]
	v_add_f64 v[172:173], v[148:149], -v[170:171]
	v_mul_f64 v[199:200], v[108:109], s[36:37]
	v_mul_f64 v[201:202], v[178:179], s[26:27]
	v_fma_f64 v[4:5], v[195:196], s[0:1], v[0:1]
	v_fma_f64 v[0:1], v[195:196], s[0:1], -v[0:1]
	v_fma_f64 v[6:7], v[84:85], s[4:5], v[2:3]
	v_mul_f64 v[10:11], v[168:169], s[26:27]
	v_fma_f64 v[2:3], v[84:85], s[4:5], -v[2:3]
	v_mul_f64 v[209:210], v[168:169], s[36:37]
	v_mul_f64 v[211:212], v[172:173], s[26:27]
	v_add_f64 v[4:5], v[62:63], v[4:5]
	v_add_f64 v[0:1], v[62:63], v[0:1]
	v_fma_f64 v[12:13], v[136:137], s[4:5], -v[10:11]
	v_add_f64 v[4:5], v[6:7], v[4:5]
	v_mul_f64 v[6:7], v[219:220], s[6:7]
	v_add_f64 v[0:1], v[2:3], v[0:1]
	v_fma_f64 v[8:9], v[217:218], s[0:1], -v[6:7]
	v_fma_f64 v[2:3], v[217:218], s[0:1], v[6:7]
	v_fma_f64 v[6:7], v[136:137], s[4:5], v[10:11]
	v_mul_f64 v[10:11], v[168:169], s[28:29]
	v_add_f64 v[8:9], v[60:61], v[8:9]
	v_add_f64 v[2:3], v[60:61], v[2:3]
	v_add_f64 v[8:9], v[12:13], v[8:9]
	v_mul_f64 v[12:13], v[178:179], s[14:15]
	v_add_f64 v[2:3], v[6:7], v[2:3]
	v_fma_f64 v[14:15], v[144:145], s[12:13], v[12:13]
	v_fma_f64 v[6:7], v[144:145], s[12:13], -v[12:13]
	v_fma_f64 v[12:13], v[136:137], s[20:21], -v[10:11]
	v_add_f64 v[4:5], v[14:15], v[4:5]
	v_mul_f64 v[14:15], v[172:173], s[14:15]
	v_add_f64 v[0:1], v[6:7], v[0:1]
	v_fma_f64 v[16:17], v[146:147], s[12:13], -v[14:15]
	v_fma_f64 v[6:7], v[146:147], s[12:13], v[14:15]
	v_add_f64 v[8:9], v[16:17], v[8:9]
	v_mul_f64 v[16:17], v[191:192], s[34:35]
	v_add_f64 v[2:3], v[6:7], v[2:3]
	v_fma_f64 v[18:19], v[158:159], s[16:17], v[16:17]
	v_fma_f64 v[6:7], v[158:159], s[16:17], -v[16:17]
	v_add_f64 v[4:5], v[18:19], v[4:5]
	v_mul_f64 v[18:19], v[189:190], s[34:35]
	v_add_f64 v[0:1], v[6:7], v[0:1]
	v_fma_f64 v[20:21], v[166:167], s[16:17], -v[18:19]
	v_fma_f64 v[6:7], v[166:167], s[16:17], v[18:19]
	v_add_f64 v[8:9], v[20:21], v[8:9]
	v_mul_f64 v[20:21], v[182:183], s[22:23]
	v_add_f64 v[2:3], v[6:7], v[2:3]
	v_fma_f64 v[22:23], v[156:157], s[18:19], v[20:21]
	;; [unrolled: 10-line block ×3, first 2 shown]
	v_fma_f64 v[6:7], v[142:143], s[20:21], -v[24:25]
	v_add_f64 v[58:59], v[27:28], v[4:5]
	v_mul_f64 v[4:5], v[154:155], s[28:29]
	v_add_f64 v[66:67], v[6:7], v[0:1]
	v_mul_f64 v[0:1], v[207:208], s[14:15]
	v_fma_f64 v[27:28], v[138:139], s[20:21], -v[4:5]
	v_fma_f64 v[4:5], v[138:139], s[20:21], v[4:5]
	v_add_f64 v[56:57], v[27:28], v[8:9]
	v_add_f64 v[64:65], v[4:5], v[2:3]
	v_fma_f64 v[2:3], v[195:196], s[12:13], v[0:1]
	v_mul_f64 v[4:5], v[108:109], s[28:29]
	v_fma_f64 v[0:1], v[195:196], s[12:13], -v[0:1]
	v_add_f64 v[2:3], v[62:63], v[2:3]
	v_fma_f64 v[6:7], v[84:85], s[20:21], v[4:5]
	v_fma_f64 v[4:5], v[84:85], s[20:21], -v[4:5]
	v_add_f64 v[0:1], v[62:63], v[0:1]
	v_add_f64 v[2:3], v[6:7], v[2:3]
	v_mul_f64 v[6:7], v[219:220], s[14:15]
	v_add_f64 v[0:1], v[4:5], v[0:1]
	v_fma_f64 v[8:9], v[217:218], s[12:13], -v[6:7]
	v_fma_f64 v[4:5], v[217:218], s[12:13], v[6:7]
	v_fma_f64 v[6:7], v[136:137], s[20:21], v[10:11]
	v_mul_f64 v[10:11], v[108:109], s[22:23]
	v_add_f64 v[8:9], v[60:61], v[8:9]
	v_add_f64 v[4:5], v[60:61], v[4:5]
	v_add_f64 v[8:9], v[12:13], v[8:9]
	v_mul_f64 v[12:13], v[178:179], s[24:25]
	v_add_f64 v[4:5], v[6:7], v[4:5]
	v_fma_f64 v[14:15], v[144:145], s[16:17], v[12:13]
	v_fma_f64 v[6:7], v[144:145], s[16:17], -v[12:13]
	v_mul_f64 v[12:13], v[178:179], s[6:7]
	v_add_f64 v[2:3], v[14:15], v[2:3]
	v_mul_f64 v[14:15], v[172:173], s[24:25]
	v_add_f64 v[0:1], v[6:7], v[0:1]
	v_fma_f64 v[16:17], v[146:147], s[16:17], -v[14:15]
	v_fma_f64 v[6:7], v[146:147], s[16:17], v[14:15]
	v_mul_f64 v[14:15], v[189:190], s[36:37]
	v_add_f64 v[8:9], v[16:17], v[8:9]
	v_mul_f64 v[16:17], v[191:192], s[38:39]
	v_add_f64 v[4:5], v[6:7], v[4:5]
	v_fma_f64 v[18:19], v[158:159], s[0:1], v[16:17]
	v_fma_f64 v[6:7], v[158:159], s[0:1], -v[16:17]
	v_mul_f64 v[16:17], v[172:173], s[6:7]
	v_add_f64 v[2:3], v[18:19], v[2:3]
	v_mul_f64 v[18:19], v[189:190], s[38:39]
	v_add_f64 v[0:1], v[6:7], v[0:1]
	v_mul_f64 v[189:190], v[189:190], s[22:23]
	v_fma_f64 v[20:21], v[166:167], s[0:1], -v[18:19]
	v_fma_f64 v[6:7], v[166:167], s[0:1], v[18:19]
	v_mul_f64 v[18:19], v[168:169], s[22:23]
	v_add_f64 v[8:9], v[20:21], v[8:9]
	v_mul_f64 v[20:21], v[182:183], s[26:27]
	v_add_f64 v[4:5], v[6:7], v[4:5]
	v_fma_f64 v[22:23], v[156:157], s[4:5], v[20:21]
	v_fma_f64 v[6:7], v[156:157], s[4:5], -v[20:21]
	v_mul_f64 v[20:21], v[207:208], s[22:23]
	v_add_f64 v[2:3], v[22:23], v[2:3]
	v_mul_f64 v[22:23], v[180:181], s[26:27]
	v_add_f64 v[0:1], v[6:7], v[0:1]
	v_fma_f64 v[24:25], v[162:163], s[4:5], -v[22:23]
	v_fma_f64 v[6:7], v[162:163], s[4:5], v[22:23]
	v_mul_f64 v[22:23], v[219:220], s[22:23]
	v_add_f64 v[8:9], v[24:25], v[8:9]
	v_mul_f64 v[24:25], v[160:161], s[22:23]
	v_add_f64 v[4:5], v[6:7], v[4:5]
	v_fma_f64 v[27:28], v[142:143], s[18:19], v[24:25]
	v_fma_f64 v[6:7], v[142:143], s[18:19], -v[24:25]
	v_mul_f64 v[24:25], v[207:208], s[24:25]
	v_add_f64 v[70:71], v[27:28], v[2:3]
	v_mul_f64 v[2:3], v[154:155], s[22:23]
	v_add_f64 v[74:75], v[6:7], v[0:1]
	v_fma_f64 v[0:1], v[195:196], s[18:19], v[20:21]
	v_mul_f64 v[6:7], v[191:192], s[36:37]
	v_fma_f64 v[35:36], v[195:196], s[16:17], v[24:25]
	v_fma_f64 v[20:21], v[195:196], s[18:19], -v[20:21]
	v_fma_f64 v[27:28], v[138:139], s[18:19], -v[2:3]
	v_fma_f64 v[2:3], v[138:139], s[18:19], v[2:3]
	v_add_f64 v[0:1], v[62:63], v[0:1]
	v_add_f64 v[227:228], v[62:63], v[20:21]
	;; [unrolled: 1-line block ×4, first 2 shown]
	v_fma_f64 v[2:3], v[84:85], s[12:13], v[199:200]
	v_fma_f64 v[4:5], v[136:137], s[12:13], -v[209:210]
	v_mul_f64 v[27:28], v[219:220], s[24:25]
	v_fma_f64 v[8:9], v[136:137], s[18:19], v[18:19]
	v_fma_f64 v[18:19], v[136:137], s[18:19], -v[18:19]
	v_add_f64 v[0:1], v[2:3], v[0:1]
	v_fma_f64 v[2:3], v[144:145], s[4:5], v[201:202]
	v_add_f64 v[0:1], v[2:3], v[0:1]
	v_fma_f64 v[2:3], v[158:159], s[20:21], v[203:204]
	;; [unrolled: 2-line block ×3, first 2 shown]
	v_add_f64 v[0:1], v[2:3], v[0:1]
	v_fma_f64 v[2:3], v[217:218], s[18:19], -v[22:23]
	v_fma_f64 v[22:23], v[217:218], s[18:19], v[22:23]
	v_add_f64 v[2:3], v[60:61], v[2:3]
	v_add_f64 v[229:230], v[60:61], v[22:23]
	v_add_f64 v[2:3], v[4:5], v[2:3]
	v_fma_f64 v[4:5], v[146:147], s[4:5], -v[211:212]
	v_add_f64 v[2:3], v[4:5], v[2:3]
	v_fma_f64 v[4:5], v[166:167], s[20:21], -v[213:214]
	v_add_f64 v[2:3], v[4:5], v[2:3]
	;; [unrolled: 2-line block ×3, first 2 shown]
	v_fma_f64 v[4:5], v[142:143], s[16:17], v[197:198]
	v_add_f64 v[78:79], v[4:5], v[0:1]
	v_fma_f64 v[0:1], v[138:139], s[16:17], -v[193:194]
	v_add_f64 v[76:77], v[0:1], v[2:3]
	v_fma_f64 v[0:1], v[195:196], s[16:17], -v[24:25]
	v_fma_f64 v[2:3], v[84:85], s[18:19], -v[10:11]
	v_mul_f64 v[24:25], v[219:220], s[30:31]
	v_fma_f64 v[10:11], v[84:85], s[18:19], v[10:11]
	v_add_f64 v[0:1], v[62:63], v[0:1]
	v_fma_f64 v[234:235], v[217:218], s[20:21], -v[24:25]
	v_add_f64 v[0:1], v[2:3], v[0:1]
	v_fma_f64 v[2:3], v[144:145], s[0:1], -v[12:13]
	v_fma_f64 v[12:13], v[144:145], s[0:1], v[12:13]
	v_add_f64 v[0:1], v[2:3], v[0:1]
	v_fma_f64 v[2:3], v[158:159], s[12:13], -v[6:7]
	v_fma_f64 v[6:7], v[158:159], s[12:13], v[6:7]
	v_add_f64 v[2:3], v[2:3], v[0:1]
	v_mul_f64 v[0:1], v[182:183], s[28:29]
	v_fma_f64 v[4:5], v[156:157], s[20:21], -v[0:1]
	v_fma_f64 v[0:1], v[156:157], s[20:21], v[0:1]
	v_add_f64 v[2:3], v[4:5], v[2:3]
	v_fma_f64 v[4:5], v[217:218], s[16:17], v[27:28]
	v_fma_f64 v[27:28], v[217:218], s[16:17], -v[27:28]
	v_add_f64 v[4:5], v[60:61], v[4:5]
	v_add_f64 v[4:5], v[8:9], v[4:5]
	v_fma_f64 v[8:9], v[146:147], s[0:1], v[16:17]
	v_fma_f64 v[16:17], v[146:147], s[0:1], -v[16:17]
	v_add_f64 v[4:5], v[8:9], v[4:5]
	v_fma_f64 v[8:9], v[166:167], s[12:13], v[14:15]
	v_fma_f64 v[14:15], v[166:167], s[12:13], -v[14:15]
	v_add_f64 v[4:5], v[8:9], v[4:5]
	v_mul_f64 v[8:9], v[180:181], s[28:29]
	v_fma_f64 v[29:30], v[162:163], s[20:21], v[8:9]
	v_fma_f64 v[8:9], v[162:163], s[20:21], -v[8:9]
	v_add_f64 v[29:30], v[29:30], v[4:5]
	v_mul_f64 v[4:5], v[160:161], s[26:27]
	v_fma_f64 v[31:32], v[142:143], s[4:5], -v[4:5]
	v_add_f64 v[82:83], v[31:32], v[2:3]
	v_mul_f64 v[2:3], v[154:155], s[26:27]
	s_mov_b32 s27, 0xbfddbe06
	v_fma_f64 v[31:32], v[138:139], s[4:5], v[2:3]
	v_add_f64 v[80:81], v[31:32], v[29:30]
	v_mul_f64 v[29:30], v[207:208], s[30:31]
	v_mul_f64 v[31:32], v[207:208], s[26:27]
	v_fma_f64 v[207:208], v[217:218], s[20:21], v[24:25]
	v_fma_f64 v[33:34], v[195:196], s[20:21], -v[29:30]
	v_fma_f64 v[29:30], v[195:196], s[20:21], v[29:30]
	v_fma_f64 v[37:38], v[195:196], s[4:5], v[31:32]
	v_fma_f64 v[31:32], v[195:196], s[4:5], -v[31:32]
	v_mul_f64 v[195:196], v[219:220], s[26:27]
	v_add_f64 v[225:226], v[60:61], v[207:208]
	v_add_f64 v[207:208], v[62:63], v[35:36]
	v_mul_f64 v[35:36], v[108:109], s[24:25]
	v_add_f64 v[24:25], v[62:63], v[33:34]
	v_add_f64 v[219:220], v[62:63], v[29:30]
	;; [unrolled: 1-line block ×4, first 2 shown]
	v_fma_f64 v[236:237], v[217:218], s[4:5], -v[195:196]
	v_fma_f64 v[238:239], v[217:218], s[4:5], v[195:196]
	v_add_f64 v[195:196], v[60:61], v[27:28]
	v_add_f64 v[27:28], v[62:63], v[31:32]
	v_fma_f64 v[37:38], v[84:85], s[16:17], -v[35:36]
	v_add_f64 v[217:218], v[60:61], v[234:235]
	v_mul_f64 v[185:186], v[191:192], s[22:23]
	v_add_f64 v[31:32], v[62:63], v[187:188]
	v_mul_f64 v[187:188], v[182:183], s[14:15]
	v_mul_f64 v[191:192], v[168:169], s[24:25]
	;; [unrolled: 1-line block ×3, first 2 shown]
	s_mov_b32 s23, 0x3fedeba7
	v_add_f64 v[10:11], v[10:11], v[207:208]
	v_add_f64 v[20:21], v[60:61], v[236:237]
	;; [unrolled: 1-line block ×3, first 2 shown]
	v_mul_f64 v[236:237], v[180:181], s[14:15]
	v_mul_f64 v[238:239], v[160:161], s[6:7]
	v_add_f64 v[27:28], v[37:38], v[27:28]
	v_mul_f64 v[37:38], v[178:179], s[30:31]
	v_add_f64 v[18:19], v[18:19], v[195:196]
	v_add_f64 v[10:11], v[12:13], v[10:11]
	v_fma_f64 v[12:13], v[84:85], s[16:17], v[35:36]
	v_fma_f64 v[60:61], v[144:145], s[20:21], -v[37:38]
	v_fma_f64 v[35:36], v[144:145], s[20:21], v[37:38]
	v_add_f64 v[16:17], v[16:17], v[18:19]
	v_fma_f64 v[18:19], v[146:147], s[20:21], -v[234:235]
	v_fma_f64 v[37:38], v[158:159], s[18:19], v[185:186]
	v_add_f64 v[6:7], v[6:7], v[10:11]
	v_add_f64 v[12:13], v[12:13], v[22:23]
	v_fma_f64 v[22:23], v[136:137], s[16:17], -v[191:192]
	v_add_f64 v[27:28], v[60:61], v[27:28]
	v_fma_f64 v[60:61], v[158:159], s[18:19], -v[185:186]
	v_add_f64 v[10:11], v[14:15], v[16:17]
	v_fma_f64 v[16:17], v[156:157], s[12:13], v[187:188]
	v_add_f64 v[12:13], v[35:36], v[12:13]
	v_add_f64 v[20:21], v[22:23], v[20:21]
	v_fma_f64 v[22:23], v[158:159], s[4:5], v[223:224]
	v_fma_f64 v[35:36], v[166:167], s[4:5], -v[221:222]
	v_add_f64 v[27:28], v[60:61], v[27:28]
	v_fma_f64 v[60:61], v[156:157], s[12:13], -v[187:188]
	v_add_f64 v[12:13], v[37:38], v[12:13]
	v_add_f64 v[18:19], v[18:19], v[20:21]
	v_fma_f64 v[37:38], v[142:143], s[4:5], v[4:5]
	v_add_f64 v[27:28], v[60:61], v[27:28]
	v_fma_f64 v[60:61], v[136:137], s[16:17], v[191:192]
	;; [unrolled: 2-line block ×6, first 2 shown]
	v_add_f64 v[29:30], v[60:61], v[29:30]
	v_fma_f64 v[60:61], v[142:143], s[0:1], -v[238:239]
	v_add_f64 v[62:63], v[60:61], v[27:28]
	v_mul_f64 v[27:28], v[154:155], s[6:7]
	v_fma_f64 v[60:61], v[138:139], s[0:1], v[27:28]
	v_fma_f64 v[27:28], v[138:139], s[0:1], -v[27:28]
	v_add_f64 v[60:61], v[60:61], v[29:30]
	v_add_f64 v[29:30], v[31:32], v[174:175]
	v_add_f64 v[31:32], v[33:34], v[150:151]
	v_fma_f64 v[33:34], v[146:147], s[4:5], v[211:212]
	v_add_f64 v[29:30], v[29:30], v[148:149]
	v_add_f64 v[31:32], v[31:32], v[152:153]
	;; [unrolled: 1-line block ×12, first 2 shown]
	v_mul_f64 v[114:115], v[172:173], s[22:23]
	v_add_f64 v[29:30], v[29:30], v[90:91]
	v_add_f64 v[31:32], v[31:32], v[88:89]
	v_fma_f64 v[120:121], v[146:147], s[18:19], v[114:115]
	v_add_f64 v[29:30], v[29:30], v[170:171]
	v_add_f64 v[31:32], v[31:32], v[140:141]
	;; [unrolled: 1-line block ×5, first 2 shown]
	v_fma_f64 v[29:30], v[84:85], s[12:13], -v[199:200]
	v_add_f64 v[86:87], v[31:32], v[86:87]
	v_fma_f64 v[31:32], v[144:145], s[4:5], -v[201:202]
	v_add_f64 v[29:30], v[29:30], v[227:228]
	v_add_f64 v[29:30], v[31:32], v[29:30]
	v_fma_f64 v[31:32], v[158:159], s[20:21], -v[203:204]
	v_add_f64 v[29:30], v[31:32], v[29:30]
	v_fma_f64 v[31:32], v[156:157], s[0:1], -v[205:206]
	v_add_f64 v[29:30], v[31:32], v[29:30]
	v_fma_f64 v[31:32], v[136:137], s[12:13], v[209:210]
	v_add_f64 v[31:32], v[31:32], v[229:230]
	v_add_f64 v[31:32], v[33:34], v[31:32]
	v_fma_f64 v[33:34], v[166:167], s[20:21], v[213:214]
	v_add_f64 v[31:32], v[33:34], v[31:32]
	v_fma_f64 v[33:34], v[162:163], s[0:1], v[215:216]
	v_add_f64 v[31:32], v[33:34], v[31:32]
	v_mul_f64 v[33:34], v[108:109], s[6:7]
	v_fma_f64 v[90:91], v[84:85], s[0:1], -v[33:34]
	v_fma_f64 v[33:34], v[84:85], s[0:1], v[33:34]
	v_fma_f64 v[84:85], v[166:167], s[18:19], -v[189:190]
	v_add_f64 v[24:25], v[90:91], v[24:25]
	v_mul_f64 v[90:91], v[178:179], s[22:23]
	v_add_f64 v[33:34], v[33:34], v[219:220]
	v_add_f64 v[18:19], v[84:85], v[18:19]
	v_fma_f64 v[84:85], v[142:143], s[0:1], v[238:239]
	v_fma_f64 v[108:109], v[144:145], s[18:19], -v[90:91]
	v_fma_f64 v[90:91], v[144:145], s[18:19], v[90:91]
	v_add_f64 v[24:25], v[108:109], v[24:25]
	v_fma_f64 v[108:109], v[158:159], s[4:5], -v[223:224]
	v_add_f64 v[33:34], v[90:91], v[33:34]
	v_add_f64 v[24:25], v[108:109], v[24:25]
	v_mul_f64 v[108:109], v[182:183], s[24:25]
	v_add_f64 v[20:21], v[22:23], v[33:34]
	v_fma_f64 v[110:111], v[156:157], s[16:17], -v[108:109]
	v_fma_f64 v[14:15], v[156:157], s[16:17], v[108:109]
	v_fma_f64 v[108:109], v[138:139], s[4:5], -v[2:3]
	v_add_f64 v[24:25], v[110:111], v[24:25]
	v_mul_f64 v[110:111], v[168:169], s[6:7]
	v_add_f64 v[14:15], v[14:15], v[20:21]
	v_fma_f64 v[112:113], v[136:137], s[0:1], v[110:111]
	v_fma_f64 v[90:91], v[136:137], s[0:1], -v[110:111]
	v_fma_f64 v[110:111], v[146:147], s[18:19], -v[114:115]
	v_add_f64 v[112:113], v[112:113], v[225:226]
	v_add_f64 v[90:91], v[90:91], v[217:218]
	;; [unrolled: 1-line block ×3, first 2 shown]
	v_fma_f64 v[120:121], v[166:167], s[4:5], v[221:222]
	v_add_f64 v[90:91], v[110:111], v[90:91]
	v_add_f64 v[112:113], v[120:121], v[112:113]
	v_mul_f64 v[120:121], v[180:181], s[24:25]
	v_add_f64 v[22:23], v[35:36], v[90:91]
	v_fma_f64 v[35:36], v[162:163], s[12:13], -v[236:237]
	v_fma_f64 v[33:34], v[162:163], s[16:17], -v[120:121]
	v_fma_f64 v[122:123], v[162:163], s[16:17], v[120:121]
	v_add_f64 v[35:36], v[35:36], v[18:19]
	v_mov_b32_e32 v18, 0x4e
	v_add_f64 v[20:21], v[33:34], v[22:23]
	v_add_f64 v[22:23], v[0:1], v[6:7]
	v_mul_f64 v[0:1], v[160:161], s[14:15]
	v_add_f64 v[33:34], v[8:9], v[10:11]
	v_fma_f64 v[6:7], v[142:143], s[16:17], -v[197:198]
	v_add_f64 v[112:113], v[122:123], v[112:113]
	v_fma_f64 v[8:9], v[142:143], s[12:13], -v[0:1]
	v_fma_f64 v[10:11], v[142:143], s[12:13], v[0:1]
	v_mul_f64 v[0:1], v[154:155], s[14:15]
	v_add_f64 v[2:3], v[6:7], v[29:30]
	v_add_f64 v[6:7], v[8:9], v[24:25]
	;; [unrolled: 1-line block ×3, first 2 shown]
	v_fma_f64 v[90:91], v[138:139], s[12:13], -v[0:1]
	v_fma_f64 v[4:5], v[138:139], s[12:13], v[0:1]
	v_add_f64 v[0:1], v[12:13], v[31:32]
	buffer_load_dword v12, off, s[52:55], 0 offset:164 ; 4-byte Folded Reload
	v_add_f64 v[14:15], v[37:38], v[22:23]
	v_add_f64 v[8:9], v[90:91], v[20:21]
	buffer_load_dword v21, off, s[52:55], 0 offset:160 ; 4-byte Folded Reload
	v_add_f64 v[4:5], v[4:5], v[112:113]
	s_waitcnt vmcnt(1)
	v_mul_u32_u24_sdwa v20, v12, v18 dst_sel:DWORD dst_unused:UNUSED_PAD src0_sel:WORD_0 src1_sel:DWORD
	v_add_f64 v[12:13], v[108:109], v[33:34]
	v_add_f64 v[18:19], v[84:85], v[16:17]
	;; [unrolled: 1-line block ×3, first 2 shown]
	s_waitcnt vmcnt(0)
	v_add_nc_u32_e32 v20, v20, v21
	v_lshl_add_u32 v20, v20, 4, v39
	ds_write_b128 v20, v[86:89]
	ds_write_b128 v20, v[60:63] offset:96
	ds_write_b128 v20, v[80:83] offset:192
	;; [unrolled: 1-line block ×12, first 2 shown]
.LBB0_17:
	s_or_b32 exec_lo, exec_lo, s33
	s_waitcnt lgkmcnt(0)
	s_barrier
	buffer_gl0_inv
	ds_read_b128 v[0:3], v26 offset:2496
	ds_read_b128 v[4:7], v26 offset:4992
	;; [unrolled: 1-line block ×8, first 2 shown]
	s_mov_b32 s4, 0x134454ff
	s_mov_b32 s5, 0xbfee6f0e
	;; [unrolled: 1-line block ×8, first 2 shown]
	s_waitcnt lgkmcnt(7)
	v_mul_f64 v[24:25], v[54:55], v[2:3]
	s_waitcnt lgkmcnt(6)
	v_mul_f64 v[29:30], v[50:51], v[6:7]
	v_mul_f64 v[31:32], v[50:51], v[4:5]
	s_waitcnt lgkmcnt(5)
	v_mul_f64 v[33:34], v[46:47], v[10:11]
	;; [unrolled: 3-line block ×3, first 2 shown]
	v_mul_f64 v[27:28], v[54:55], v[0:1]
	v_mul_f64 v[35:36], v[42:43], v[12:13]
	s_waitcnt lgkmcnt(2)
	v_mul_f64 v[68:69], v[50:51], v[22:23]
	v_mul_f64 v[50:51], v[50:51], v[20:21]
	s_waitcnt lgkmcnt(1)
	v_mul_f64 v[70:71], v[46:47], v[58:59]
	v_mul_f64 v[46:47], v[46:47], v[56:57]
	;; [unrolled: 1-line block ×4, first 2 shown]
	s_waitcnt lgkmcnt(0)
	v_mul_f64 v[72:73], v[42:43], v[62:63]
	v_mul_f64 v[42:43], v[42:43], v[60:61]
	v_fma_f64 v[24:25], v[52:53], v[0:1], v[24:25]
	v_fma_f64 v[29:30], v[48:49], v[4:5], v[29:30]
	v_fma_f64 v[31:32], v[48:49], v[6:7], -v[31:32]
	v_fma_f64 v[8:9], v[44:45], v[8:9], v[33:34]
	v_fma_f64 v[10:11], v[44:45], v[10:11], -v[37:38]
	;; [unrolled: 2-line block ×3, first 2 shown]
	v_fma_f64 v[14:15], v[40:41], v[14:15], -v[35:36]
	v_fma_f64 v[20:21], v[48:49], v[20:21], v[68:69]
	v_fma_f64 v[22:23], v[48:49], v[22:23], -v[50:51]
	v_fma_f64 v[33:34], v[44:45], v[56:57], v[70:71]
	;; [unrolled: 2-line block ×4, first 2 shown]
	v_fma_f64 v[42:43], v[40:41], v[62:63], -v[42:43]
	ds_read_b128 v[0:3], v26
	ds_read_b128 v[4:7], v26 offset:1248
	s_waitcnt lgkmcnt(0)
	s_barrier
	buffer_gl0_inv
	v_add_f64 v[50:51], v[24:25], -v[29:30]
	v_add_f64 v[56:57], v[29:30], -v[24:25]
	v_add_f64 v[44:45], v[29:30], v[8:9]
	v_add_f64 v[62:63], v[31:32], v[10:11]
	;; [unrolled: 1-line block ×3, first 2 shown]
	v_add_f64 v[52:53], v[12:13], -v[8:9]
	v_add_f64 v[68:69], v[27:28], v[14:15]
	v_add_f64 v[46:47], v[27:28], -v[14:15]
	v_add_f64 v[48:49], v[31:32], -v[10:11]
	v_add_f64 v[72:73], v[20:21], v[33:34]
	v_add_f64 v[82:83], v[22:23], v[37:38]
	v_add_f64 v[58:59], v[8:9], -v[12:13]
	v_add_f64 v[66:67], v[27:28], -v[31:32]
	v_add_f64 v[39:40], v[0:1], v[24:25]
	v_add_f64 v[76:77], v[16:17], v[35:36]
	;; [unrolled: 1-line block ×4, first 2 shown]
	v_add_f64 v[24:25], v[24:25], -v[12:13]
	v_add_f64 v[70:71], v[14:15], -v[10:11]
	;; [unrolled: 1-line block ×5, first 2 shown]
	v_add_f64 v[78:79], v[4:5], v[16:17]
	v_add_f64 v[112:113], v[6:7], v[18:19]
	v_fma_f64 v[44:45], v[44:45], -0.5, v[0:1]
	v_fma_f64 v[62:63], v[62:63], -0.5, v[2:3]
	;; [unrolled: 1-line block ×3, first 2 shown]
	v_add_f64 v[80:81], v[18:19], -v[42:43]
	v_fma_f64 v[2:3], v[68:69], -0.5, v[2:3]
	v_add_f64 v[88:89], v[16:17], -v[20:21]
	v_add_f64 v[108:109], v[20:21], -v[16:17]
	;; [unrolled: 1-line block ×3, first 2 shown]
	v_fma_f64 v[72:73], v[72:73], -0.5, v[4:5]
	v_add_f64 v[86:87], v[22:23], -v[37:38]
	v_add_f64 v[90:91], v[35:36], -v[33:34]
	v_add_f64 v[29:30], v[39:40], v[29:30]
	v_add_f64 v[39:40], v[50:51], v[52:53]
	v_fma_f64 v[50:51], v[82:83], -0.5, v[6:7]
	v_add_f64 v[54:55], v[20:21], -v[33:34]
	v_fma_f64 v[4:5], v[76:77], -0.5, v[4:5]
	v_fma_f64 v[6:7], v[84:85], -0.5, v[6:7]
	v_add_f64 v[31:32], v[60:61], v[31:32]
	v_add_f64 v[114:115], v[18:19], -v[22:23]
	v_add_f64 v[18:19], v[22:23], -v[18:19]
	;; [unrolled: 1-line block ×3, first 2 shown]
	v_add_f64 v[52:53], v[56:57], v[58:59]
	v_add_f64 v[56:57], v[66:67], v[70:71]
	v_fma_f64 v[60:61], v[46:47], s[4:5], v[44:45]
	v_fma_f64 v[44:45], v[46:47], s[12:13], v[44:45]
	;; [unrolled: 1-line block ×5, first 2 shown]
	v_add_f64 v[27:28], v[27:28], v[74:75]
	v_fma_f64 v[74:75], v[64:65], s[4:5], v[2:3]
	v_fma_f64 v[2:3], v[64:65], s[12:13], v[2:3]
	;; [unrolled: 1-line block ×3, first 2 shown]
	v_add_f64 v[20:21], v[78:79], v[20:21]
	v_add_f64 v[22:23], v[112:113], v[22:23]
	v_add_f64 v[68:69], v[42:43], -v[37:38]
	v_fma_f64 v[78:79], v[80:81], s[4:5], v[72:73]
	v_fma_f64 v[84:85], v[16:17], s[12:13], v[50:51]
	v_add_f64 v[110:111], v[33:34], -v[35:36]
	v_add_f64 v[58:59], v[88:89], v[90:91]
	v_fma_f64 v[82:83], v[86:87], s[12:13], v[4:5]
	v_fma_f64 v[88:89], v[54:55], s[4:5], v[6:7]
	;; [unrolled: 1-line block ×6, first 2 shown]
	v_add_f64 v[8:9], v[29:30], v[8:9]
	v_add_f64 v[10:11], v[31:32], v[10:11]
	;; [unrolled: 1-line block ×3, first 2 shown]
	v_fma_f64 v[18:19], v[48:49], s[0:1], v[60:61]
	v_fma_f64 v[29:30], v[48:49], s[6:7], v[44:45]
	;; [unrolled: 1-line block ×8, first 2 shown]
	v_add_f64 v[20:21], v[20:21], v[33:34]
	v_add_f64 v[22:23], v[22:23], v[37:38]
	;; [unrolled: 1-line block ×3, first 2 shown]
	v_fma_f64 v[33:34], v[86:87], s[0:1], v[78:79]
	v_fma_f64 v[37:38], v[54:55], s[6:7], v[84:85]
	v_add_f64 v[76:77], v[108:109], v[110:111]
	v_fma_f64 v[64:65], v[80:81], s[0:1], v[82:83]
	v_fma_f64 v[70:71], v[16:17], s[6:7], v[88:89]
	;; [unrolled: 1-line block ×6, first 2 shown]
	s_mov_b32 s0, 0x372fe950
	s_mov_b32 s1, 0x3fd3c6ef
	v_add_f64 v[0:1], v[8:9], v[12:13]
	v_add_f64 v[2:3], v[10:11], v[14:15]
	v_fma_f64 v[4:5], v[39:40], s[0:1], v[18:19]
	v_fma_f64 v[12:13], v[52:53], s[0:1], v[31:32]
	;; [unrolled: 1-line block ×8, first 2 shown]
	v_add_f64 v[20:21], v[20:21], v[35:36]
	v_add_f64 v[22:23], v[22:23], v[42:43]
	v_fma_f64 v[40:41], v[58:59], s[0:1], v[33:34]
	v_fma_f64 v[42:43], v[68:69], s[0:1], v[37:38]
	;; [unrolled: 1-line block ×8, first 2 shown]
	ds_write_b128 v26, v[0:3]
	ds_write_b128 v26, v[4:7] offset:1248
	ds_write_b128 v26, v[12:15] offset:2496
	;; [unrolled: 1-line block ×9, first 2 shown]
	s_waitcnt lgkmcnt(0)
	s_barrier
	buffer_gl0_inv
	ds_read_b128 v[0:3], v26 offset:6240
	ds_read_b128 v[4:7], v26 offset:7488
	;; [unrolled: 1-line block ×6, first 2 shown]
	ds_read_b128 v[40:43], v26
	ds_read_b128 v[44:47], v26 offset:1248
	ds_read_b128 v[48:51], v26 offset:2496
	;; [unrolled: 1-line block ×3, first 2 shown]
	s_mul_i32 s5, s9, 0x1860
	s_mul_hi_u32 s7, s8, 0x1860
	s_mul_i32 s4, s8, 0x1860
	s_mov_b32 s0, 0x15015015
	s_mov_b32 s1, 0x3f550150
	s_add_i32 s5, s7, s5
	s_mul_i32 s6, s8, 0xffffec80
	s_waitcnt lgkmcnt(9)
	v_mul_f64 v[24:25], v[94:95], v[2:3]
	v_mul_f64 v[27:28], v[94:95], v[0:1]
	s_waitcnt lgkmcnt(8)
	v_mul_f64 v[29:30], v[102:103], v[6:7]
	v_mul_f64 v[31:32], v[102:103], v[4:5]
	s_waitcnt lgkmcnt(7)
	v_mul_f64 v[33:34], v[98:99], v[10:11]
	v_mul_f64 v[35:36], v[98:99], v[8:9]
	s_waitcnt lgkmcnt(6)
	v_mul_f64 v[37:38], v[106:107], v[14:15]
	v_mul_f64 v[56:57], v[106:107], v[12:13]
	s_waitcnt lgkmcnt(5)
	v_mul_f64 v[58:59], v[118:119], v[18:19]
	v_mul_f64 v[60:61], v[118:119], v[16:17]
	v_fma_f64 v[0:1], v[92:93], v[0:1], v[24:25]
	v_fma_f64 v[2:3], v[92:93], v[2:3], -v[27:28]
	v_fma_f64 v[4:5], v[100:101], v[4:5], v[29:30]
	v_fma_f64 v[6:7], v[100:101], v[6:7], -v[31:32]
	;; [unrolled: 2-line block ×5, first 2 shown]
	v_mad_u64_u32 v[24:25], null, s10, v184, 0
	v_mad_u64_u32 v[27:28], null, s8, v255, 0
	s_mul_i32 s10, s9, 0xffffec80
	v_mad_u64_u32 v[29:30], null, s11, v184, v[25:26]
	v_mov_b32_e32 v25, v28
	s_waitcnt lgkmcnt(3)
	v_add_f64 v[0:1], v[40:41], -v[0:1]
	v_add_f64 v[2:3], v[42:43], -v[2:3]
	s_waitcnt lgkmcnt(2)
	v_add_f64 v[4:5], v[44:45], -v[4:5]
	v_add_f64 v[6:7], v[46:47], -v[6:7]
	s_waitcnt lgkmcnt(1)
	v_add_f64 v[8:9], v[48:49], -v[8:9]
	v_add_f64 v[10:11], v[50:51], -v[10:11]
	s_waitcnt lgkmcnt(0)
	v_add_f64 v[12:13], v[52:53], -v[12:13]
	v_add_f64 v[14:15], v[54:55], -v[14:15]
	v_add_f64 v[16:17], v[20:21], -v[16:17]
	v_add_f64 v[18:19], v[22:23], -v[18:19]
	v_mad_u64_u32 v[30:31], null, s9, v255, v[25:26]
	v_mov_b32_e32 v25, v29
	s_mul_hi_u32 s9, s8, 0xffffec80
	s_sub_i32 s8, s9, s8
	v_lshlrev_b64 v[24:25], 4, v[24:25]
	v_mov_b32_e32 v28, v30
	s_add_i32 s7, s8, s10
	v_fma_f64 v[40:41], v[40:41], 2.0, -v[0:1]
	v_fma_f64 v[42:43], v[42:43], 2.0, -v[2:3]
	;; [unrolled: 1-line block ×10, first 2 shown]
	v_lshlrev_b64 v[27:28], 4, v[27:28]
	v_add_co_u32 v24, vcc_lo, s2, v24
	v_add_co_ci_u32_e32 v25, vcc_lo, s3, v25, vcc_lo
	ds_write_b128 v26, v[0:3] offset:6240
	ds_write_b128 v26, v[4:7] offset:7488
	;; [unrolled: 1-line block ×5, first 2 shown]
	ds_write_b128 v26, v[40:43]
	ds_write_b128 v26, v[44:47] offset:1248
	ds_write_b128 v26, v[48:51] offset:2496
	ds_write_b128 v26, v[52:55] offset:3744
	ds_write_b128 v26, v[20:23] offset:4992
	v_add_co_u32 v32, vcc_lo, v24, v27
	s_waitcnt lgkmcnt(0)
	s_barrier
	buffer_gl0_inv
	ds_read_b128 v[0:3], v26
	ds_read_b128 v[4:7], v26 offset:6240
	v_add_co_ci_u32_e32 v33, vcc_lo, v25, v28, vcc_lo
	ds_read_b128 v[8:11], v26 offset:1248
	ds_read_b128 v[12:15], v26 offset:2496
	;; [unrolled: 1-line block ×8, first 2 shown]
	s_clause 0x7
	buffer_load_dword v84, off, s[52:55], 0
	buffer_load_dword v85, off, s[52:55], 0 offset:4
	buffer_load_dword v86, off, s[52:55], 0 offset:8
	;; [unrolled: 1-line block ×7, first 2 shown]
	v_add_co_u32 v34, vcc_lo, v32, s4
	v_add_co_ci_u32_e32 v35, vcc_lo, s5, v33, vcc_lo
	v_add_co_u32 v36, vcc_lo, v34, s6
	v_add_co_ci_u32_e32 v37, vcc_lo, s7, v35, vcc_lo
	;; [unrolled: 2-line block ×3, first 2 shown]
	s_waitcnt vmcnt(4) lgkmcnt(9)
	v_mul_f64 v[28:29], v[86:87], v[2:3]
	v_mul_f64 v[30:31], v[86:87], v[0:1]
	s_clause 0x3
	buffer_load_dword v86, off, s[52:55], 0 offset:16
	buffer_load_dword v87, off, s[52:55], 0 offset:20
	;; [unrolled: 1-line block ×4, first 2 shown]
	s_waitcnt vmcnt(4) lgkmcnt(8)
	v_mul_f64 v[38:39], v[94:95], v[6:7]
	v_mul_f64 v[52:53], v[94:95], v[4:5]
	v_fma_f64 v[0:1], v[84:85], v[0:1], v[28:29]
	v_fma_f64 v[2:3], v[84:85], v[2:3], -v[30:31]
	v_fma_f64 v[4:5], v[92:93], v[4:5], v[38:39]
	v_fma_f64 v[6:7], v[92:93], v[6:7], -v[52:53]
	v_add_co_u32 v38, vcc_lo, v58, s6
	v_add_co_ci_u32_e32 v39, vcc_lo, s7, v59, vcc_lo
	v_mul_f64 v[0:1], v[0:1], s[0:1]
	v_mul_f64 v[2:3], v[2:3], s[0:1]
	;; [unrolled: 1-line block ×4, first 2 shown]
	s_waitcnt vmcnt(0) lgkmcnt(7)
	v_mul_f64 v[54:55], v[88:89], v[10:11]
	v_mul_f64 v[56:57], v[88:89], v[8:9]
	s_clause 0x7
	buffer_load_dword v88, off, s[52:55], 0 offset:32
	buffer_load_dword v89, off, s[52:55], 0 offset:36
	;; [unrolled: 1-line block ×8, first 2 shown]
	v_fma_f64 v[8:9], v[86:87], v[8:9], v[54:55]
	v_fma_f64 v[10:11], v[86:87], v[10:11], -v[56:57]
	v_mul_f64 v[8:9], v[8:9], s[0:1]
	v_mul_f64 v[10:11], v[10:11], s[0:1]
	s_waitcnt vmcnt(4) lgkmcnt(5)
	v_mul_f64 v[60:61], v[90:91], v[18:19]
	s_waitcnt vmcnt(0)
	v_mul_f64 v[64:65], v[102:103], v[14:15]
	v_mul_f64 v[66:67], v[102:103], v[12:13]
	s_clause 0x7
	buffer_load_dword v102, off, s[52:55], 0 offset:112
	buffer_load_dword v103, off, s[52:55], 0 offset:116
	;; [unrolled: 1-line block ×8, first 2 shown]
	v_mul_f64 v[62:63], v[90:91], v[16:17]
	v_fma_f64 v[16:17], v[88:89], v[16:17], v[60:61]
	v_fma_f64 v[52:53], v[100:101], v[12:13], v[64:65]
	v_fma_f64 v[54:55], v[100:101], v[14:15], -v[66:67]
	v_fma_f64 v[18:19], v[88:89], v[18:19], -v[62:63]
	v_add_co_u32 v62, vcc_lo, v38, s4
	v_add_co_ci_u32_e32 v63, vcc_lo, s5, v39, vcc_lo
	v_mul_f64 v[12:13], v[16:17], s[0:1]
	v_mul_f64 v[16:17], v[52:53], s[0:1]
	;; [unrolled: 1-line block ×4, first 2 shown]
	s_waitcnt vmcnt(4) lgkmcnt(4)
	v_mul_f64 v[68:69], v[104:105], v[22:23]
	s_waitcnt vmcnt(0) lgkmcnt(3)
	v_mul_f64 v[72:73], v[96:97], v[42:43]
	v_mul_f64 v[74:75], v[96:97], v[40:41]
	s_clause 0x3
	buffer_load_dword v96, off, s[52:55], 0 offset:80
	buffer_load_dword v97, off, s[52:55], 0 offset:84
	;; [unrolled: 1-line block ×4, first 2 shown]
	v_mul_f64 v[70:71], v[104:105], v[20:21]
	s_clause 0x7
	buffer_load_dword v104, off, s[52:55], 0 offset:128
	buffer_load_dword v105, off, s[52:55], 0 offset:132
	;; [unrolled: 1-line block ×8, first 2 shown]
	global_store_dwordx4 v[32:33], v[0:3], off
	global_store_dwordx4 v[34:35], v[4:7], off
	v_add_co_u32 v32, vcc_lo, v62, s6
	v_add_co_ci_u32_e32 v33, vcc_lo, s7, v63, vcc_lo
	global_store_dwordx4 v[36:37], v[8:11], off
	v_add_co_u32 v8, vcc_lo, v32, s4
	v_add_co_ci_u32_e32 v9, vcc_lo, s5, v33, vcc_lo
	;; [unrolled: 3-line block ×3, first 2 shown]
	v_fma_f64 v[20:21], v[102:103], v[20:21], v[68:69]
	v_fma_f64 v[40:41], v[94:95], v[40:41], v[72:73]
	v_fma_f64 v[42:43], v[94:95], v[42:43], -v[74:75]
	v_add_co_u32 v12, vcc_lo, v10, s4
	v_fma_f64 v[22:23], v[102:103], v[22:23], -v[70:71]
	v_add_co_ci_u32_e32 v13, vcc_lo, s5, v11, vcc_lo
	global_store_dwordx4 v[38:39], v[16:19], off
	v_mul_f64 v[20:21], v[20:21], s[0:1]
	v_mul_f64 v[22:23], v[22:23], s[0:1]
	s_waitcnt vmcnt(8) lgkmcnt(1)
	v_mul_f64 v[76:77], v[98:99], v[50:51]
	v_mul_f64 v[78:79], v[98:99], v[48:49]
	s_waitcnt vmcnt(4)
	v_mul_f64 v[80:81], v[106:107], v[46:47]
	v_mul_f64 v[82:83], v[106:107], v[44:45]
	s_waitcnt vmcnt(0) lgkmcnt(0)
	v_mul_f64 v[28:29], v[92:93], v[26:27]
	v_mul_f64 v[30:31], v[92:93], v[24:25]
	v_fma_f64 v[48:49], v[96:97], v[48:49], v[76:77]
	v_fma_f64 v[50:51], v[96:97], v[50:51], -v[78:79]
	v_fma_f64 v[44:45], v[104:105], v[44:45], v[80:81]
	v_fma_f64 v[46:47], v[104:105], v[46:47], -v[82:83]
	;; [unrolled: 2-line block ×3, first 2 shown]
	v_mul_f64 v[24:25], v[40:41], s[0:1]
	v_mul_f64 v[26:27], v[42:43], s[0:1]
	v_mul_f64 v[28:29], v[48:49], s[0:1]
	v_mul_f64 v[30:31], v[50:51], s[0:1]
	v_mul_f64 v[0:1], v[44:45], s[0:1]
	v_mul_f64 v[2:3], v[46:47], s[0:1]
	v_mul_f64 v[4:5], v[56:57], s[0:1]
	v_mul_f64 v[6:7], v[60:61], s[0:1]
	global_store_dwordx4 v[62:63], v[20:23], off
	global_store_dwordx4 v[32:33], v[24:27], off
	;; [unrolled: 1-line block ×5, first 2 shown]
.LBB0_18:
	s_endpgm
	.section	.rodata,"a",@progbits
	.p2align	6, 0x0
	.amdhsa_kernel bluestein_single_fwd_len780_dim1_dp_op_CI_CI
		.amdhsa_group_segment_fixed_size 37440
		.amdhsa_private_segment_fixed_size 308
		.amdhsa_kernarg_size 104
		.amdhsa_user_sgpr_count 6
		.amdhsa_user_sgpr_private_segment_buffer 1
		.amdhsa_user_sgpr_dispatch_ptr 0
		.amdhsa_user_sgpr_queue_ptr 0
		.amdhsa_user_sgpr_kernarg_segment_ptr 1
		.amdhsa_user_sgpr_dispatch_id 0
		.amdhsa_user_sgpr_flat_scratch_init 0
		.amdhsa_user_sgpr_private_segment_size 0
		.amdhsa_wavefront_size32 1
		.amdhsa_uses_dynamic_stack 0
		.amdhsa_system_sgpr_private_segment_wavefront_offset 1
		.amdhsa_system_sgpr_workgroup_id_x 1
		.amdhsa_system_sgpr_workgroup_id_y 0
		.amdhsa_system_sgpr_workgroup_id_z 0
		.amdhsa_system_sgpr_workgroup_info 0
		.amdhsa_system_vgpr_workitem_id 0
		.amdhsa_next_free_vgpr 256
		.amdhsa_next_free_sgpr 56
		.amdhsa_reserve_vcc 1
		.amdhsa_reserve_flat_scratch 0
		.amdhsa_float_round_mode_32 0
		.amdhsa_float_round_mode_16_64 0
		.amdhsa_float_denorm_mode_32 3
		.amdhsa_float_denorm_mode_16_64 3
		.amdhsa_dx10_clamp 1
		.amdhsa_ieee_mode 1
		.amdhsa_fp16_overflow 0
		.amdhsa_workgroup_processor_mode 1
		.amdhsa_memory_ordered 1
		.amdhsa_forward_progress 0
		.amdhsa_shared_vgpr_count 0
		.amdhsa_exception_fp_ieee_invalid_op 0
		.amdhsa_exception_fp_denorm_src 0
		.amdhsa_exception_fp_ieee_div_zero 0
		.amdhsa_exception_fp_ieee_overflow 0
		.amdhsa_exception_fp_ieee_underflow 0
		.amdhsa_exception_fp_ieee_inexact 0
		.amdhsa_exception_int_div_zero 0
	.end_amdhsa_kernel
	.text
.Lfunc_end0:
	.size	bluestein_single_fwd_len780_dim1_dp_op_CI_CI, .Lfunc_end0-bluestein_single_fwd_len780_dim1_dp_op_CI_CI
                                        ; -- End function
	.section	.AMDGPU.csdata,"",@progbits
; Kernel info:
; codeLenInByte = 20532
; NumSgprs: 58
; NumVgprs: 256
; ScratchSize: 308
; MemoryBound: 0
; FloatMode: 240
; IeeeMode: 1
; LDSByteSize: 37440 bytes/workgroup (compile time only)
; SGPRBlocks: 7
; VGPRBlocks: 31
; NumSGPRsForWavesPerEU: 58
; NumVGPRsForWavesPerEU: 256
; Occupancy: 4
; WaveLimiterHint : 1
; COMPUTE_PGM_RSRC2:SCRATCH_EN: 1
; COMPUTE_PGM_RSRC2:USER_SGPR: 6
; COMPUTE_PGM_RSRC2:TRAP_HANDLER: 0
; COMPUTE_PGM_RSRC2:TGID_X_EN: 1
; COMPUTE_PGM_RSRC2:TGID_Y_EN: 0
; COMPUTE_PGM_RSRC2:TGID_Z_EN: 0
; COMPUTE_PGM_RSRC2:TIDIG_COMP_CNT: 0
	.text
	.p2alignl 6, 3214868480
	.fill 48, 4, 3214868480
	.type	__hip_cuid_4c3e3ac8ee3b426d,@object ; @__hip_cuid_4c3e3ac8ee3b426d
	.section	.bss,"aw",@nobits
	.globl	__hip_cuid_4c3e3ac8ee3b426d
__hip_cuid_4c3e3ac8ee3b426d:
	.byte	0                               ; 0x0
	.size	__hip_cuid_4c3e3ac8ee3b426d, 1

	.ident	"AMD clang version 19.0.0git (https://github.com/RadeonOpenCompute/llvm-project roc-6.4.0 25133 c7fe45cf4b819c5991fe208aaa96edf142730f1d)"
	.section	".note.GNU-stack","",@progbits
	.addrsig
	.addrsig_sym __hip_cuid_4c3e3ac8ee3b426d
	.amdgpu_metadata
---
amdhsa.kernels:
  - .args:
      - .actual_access:  read_only
        .address_space:  global
        .offset:         0
        .size:           8
        .value_kind:     global_buffer
      - .actual_access:  read_only
        .address_space:  global
        .offset:         8
        .size:           8
        .value_kind:     global_buffer
      - .actual_access:  read_only
        .address_space:  global
        .offset:         16
        .size:           8
        .value_kind:     global_buffer
      - .actual_access:  read_only
        .address_space:  global
        .offset:         24
        .size:           8
        .value_kind:     global_buffer
      - .actual_access:  read_only
        .address_space:  global
        .offset:         32
        .size:           8
        .value_kind:     global_buffer
      - .offset:         40
        .size:           8
        .value_kind:     by_value
      - .address_space:  global
        .offset:         48
        .size:           8
        .value_kind:     global_buffer
      - .address_space:  global
        .offset:         56
        .size:           8
        .value_kind:     global_buffer
      - .address_space:  global
        .offset:         64
        .size:           8
        .value_kind:     global_buffer
      - .address_space:  global
        .offset:         72
        .size:           8
        .value_kind:     global_buffer
      - .offset:         80
        .size:           4
        .value_kind:     by_value
      - .address_space:  global
        .offset:         88
        .size:           8
        .value_kind:     global_buffer
      - .address_space:  global
        .offset:         96
        .size:           8
        .value_kind:     global_buffer
    .group_segment_fixed_size: 37440
    .kernarg_segment_align: 8
    .kernarg_segment_size: 104
    .language:       OpenCL C
    .language_version:
      - 2
      - 0
    .max_flat_workgroup_size: 234
    .name:           bluestein_single_fwd_len780_dim1_dp_op_CI_CI
    .private_segment_fixed_size: 308
    .sgpr_count:     58
    .sgpr_spill_count: 0
    .symbol:         bluestein_single_fwd_len780_dim1_dp_op_CI_CI.kd
    .uniform_work_group_size: 1
    .uses_dynamic_stack: false
    .vgpr_count:     256
    .vgpr_spill_count: 76
    .wavefront_size: 32
    .workgroup_processor_mode: 1
amdhsa.target:   amdgcn-amd-amdhsa--gfx1030
amdhsa.version:
  - 1
  - 2
...

	.end_amdgpu_metadata
